;; amdgpu-corpus repo=ROCm/rocFFT kind=compiled arch=gfx950 opt=O3
	.text
	.amdgcn_target "amdgcn-amd-amdhsa--gfx950"
	.amdhsa_code_object_version 6
	.protected	fft_rtc_back_len2880_factors_10_6_6_2_2_2_wgs_96_tpt_96_halfLds_dp_ip_CI_unitstride_sbrr_R2C_dirReg ; -- Begin function fft_rtc_back_len2880_factors_10_6_6_2_2_2_wgs_96_tpt_96_halfLds_dp_ip_CI_unitstride_sbrr_R2C_dirReg
	.globl	fft_rtc_back_len2880_factors_10_6_6_2_2_2_wgs_96_tpt_96_halfLds_dp_ip_CI_unitstride_sbrr_R2C_dirReg
	.p2align	8
	.type	fft_rtc_back_len2880_factors_10_6_6_2_2_2_wgs_96_tpt_96_halfLds_dp_ip_CI_unitstride_sbrr_R2C_dirReg,@function
fft_rtc_back_len2880_factors_10_6_6_2_2_2_wgs_96_tpt_96_halfLds_dp_ip_CI_unitstride_sbrr_R2C_dirReg: ; @fft_rtc_back_len2880_factors_10_6_6_2_2_2_wgs_96_tpt_96_halfLds_dp_ip_CI_unitstride_sbrr_R2C_dirReg
; %bb.0:
	s_load_dwordx2 s[8:9], s[0:1], 0x50
	s_load_dwordx4 s[4:7], s[0:1], 0x0
	s_load_dwordx2 s[10:11], s[0:1], 0x18
	v_mul_u32_u24_e32 v1, 0x2ab, v0
	v_add_u32_sdwa v6, s2, v1 dst_sel:DWORD dst_unused:UNUSED_PAD src0_sel:DWORD src1_sel:WORD_1
	v_mov_b32_e32 v4, 0
	s_waitcnt lgkmcnt(0)
	v_cmp_lt_u64_e64 s[2:3], s[6:7], 2
	v_mov_b32_e32 v7, v4
	s_and_b64 vcc, exec, s[2:3]
	v_mov_b64_e32 v[2:3], 0
	s_cbranch_vccnz .LBB0_8
; %bb.1:
	s_load_dwordx2 s[2:3], s[0:1], 0x10
	s_add_u32 s12, s10, 8
	s_addc_u32 s13, s11, 0
	s_mov_b64 s[14:15], 1
	v_mov_b64_e32 v[2:3], 0
	s_waitcnt lgkmcnt(0)
	s_add_u32 s16, s2, 8
	s_addc_u32 s17, s3, 0
.LBB0_2:                                ; =>This Inner Loop Header: Depth=1
	s_load_dwordx2 s[18:19], s[16:17], 0x0
                                        ; implicit-def: $vgpr8_vgpr9
	s_waitcnt lgkmcnt(0)
	v_or_b32_e32 v5, s19, v7
	v_cmp_ne_u64_e32 vcc, 0, v[4:5]
	s_and_saveexec_b64 s[2:3], vcc
	s_xor_b64 s[20:21], exec, s[2:3]
	s_cbranch_execz .LBB0_4
; %bb.3:                                ;   in Loop: Header=BB0_2 Depth=1
	v_cvt_f32_u32_e32 v1, s18
	v_cvt_f32_u32_e32 v5, s19
	s_sub_u32 s2, 0, s18
	s_subb_u32 s3, 0, s19
	v_fmac_f32_e32 v1, 0x4f800000, v5
	v_rcp_f32_e32 v1, v1
	s_nop 0
	v_mul_f32_e32 v1, 0x5f7ffffc, v1
	v_mul_f32_e32 v5, 0x2f800000, v1
	v_trunc_f32_e32 v5, v5
	v_fmac_f32_e32 v1, 0xcf800000, v5
	v_cvt_u32_f32_e32 v5, v5
	v_cvt_u32_f32_e32 v1, v1
	v_mul_lo_u32 v8, s2, v5
	v_mul_hi_u32 v10, s2, v1
	v_mul_lo_u32 v9, s3, v1
	v_add_u32_e32 v10, v10, v8
	v_mul_lo_u32 v12, s2, v1
	v_add_u32_e32 v13, v10, v9
	v_mul_hi_u32 v8, v1, v12
	v_mul_hi_u32 v11, v1, v13
	v_mul_lo_u32 v10, v1, v13
	v_mov_b32_e32 v9, v4
	v_lshl_add_u64 v[8:9], v[8:9], 0, v[10:11]
	v_mul_hi_u32 v11, v5, v12
	v_mul_lo_u32 v12, v5, v12
	v_add_co_u32_e32 v8, vcc, v8, v12
	v_mul_hi_u32 v10, v5, v13
	s_nop 0
	v_addc_co_u32_e32 v8, vcc, v9, v11, vcc
	v_mov_b32_e32 v9, v4
	s_nop 0
	v_addc_co_u32_e32 v11, vcc, 0, v10, vcc
	v_mul_lo_u32 v10, v5, v13
	v_lshl_add_u64 v[8:9], v[8:9], 0, v[10:11]
	v_add_co_u32_e32 v1, vcc, v1, v8
	v_mul_lo_u32 v10, s2, v1
	s_nop 0
	v_addc_co_u32_e32 v5, vcc, v5, v9, vcc
	v_mul_lo_u32 v8, s2, v5
	v_mul_hi_u32 v9, s2, v1
	v_add_u32_e32 v8, v9, v8
	v_mul_lo_u32 v9, s3, v1
	v_add_u32_e32 v12, v8, v9
	v_mul_hi_u32 v14, v5, v10
	v_mul_lo_u32 v15, v5, v10
	v_mul_hi_u32 v9, v1, v12
	v_mul_lo_u32 v8, v1, v12
	v_mul_hi_u32 v10, v1, v10
	v_mov_b32_e32 v11, v4
	v_lshl_add_u64 v[8:9], v[10:11], 0, v[8:9]
	v_add_co_u32_e32 v8, vcc, v8, v15
	v_mul_hi_u32 v13, v5, v12
	s_nop 0
	v_addc_co_u32_e32 v8, vcc, v9, v14, vcc
	v_mul_lo_u32 v10, v5, v12
	s_nop 0
	v_addc_co_u32_e32 v11, vcc, 0, v13, vcc
	v_mov_b32_e32 v9, v4
	v_lshl_add_u64 v[8:9], v[8:9], 0, v[10:11]
	v_add_co_u32_e32 v1, vcc, v1, v8
	v_mul_hi_u32 v10, v6, v1
	s_nop 0
	v_addc_co_u32_e32 v5, vcc, v5, v9, vcc
	v_mad_u64_u32 v[8:9], s[2:3], v6, v5, 0
	v_mov_b32_e32 v11, v4
	v_lshl_add_u64 v[8:9], v[10:11], 0, v[8:9]
	v_mad_u64_u32 v[12:13], s[2:3], v7, v1, 0
	v_add_co_u32_e32 v1, vcc, v8, v12
	v_mad_u64_u32 v[10:11], s[2:3], v7, v5, 0
	s_nop 0
	v_addc_co_u32_e32 v8, vcc, v9, v13, vcc
	v_mov_b32_e32 v9, v4
	s_nop 0
	v_addc_co_u32_e32 v11, vcc, 0, v11, vcc
	v_lshl_add_u64 v[8:9], v[8:9], 0, v[10:11]
	v_mul_lo_u32 v1, s19, v8
	v_mul_lo_u32 v5, s18, v9
	v_mad_u64_u32 v[10:11], s[2:3], s18, v8, 0
	v_add3_u32 v1, v11, v5, v1
	v_sub_u32_e32 v5, v7, v1
	v_mov_b32_e32 v11, s19
	v_sub_co_u32_e32 v14, vcc, v6, v10
	v_lshl_add_u64 v[12:13], v[8:9], 0, 1
	s_nop 0
	v_subb_co_u32_e64 v5, s[2:3], v5, v11, vcc
	v_subrev_co_u32_e64 v10, s[2:3], s18, v14
	v_subb_co_u32_e32 v1, vcc, v7, v1, vcc
	s_nop 0
	v_subbrev_co_u32_e64 v5, s[2:3], 0, v5, s[2:3]
	v_cmp_le_u32_e64 s[2:3], s19, v5
	v_cmp_le_u32_e32 vcc, s19, v1
	s_nop 0
	v_cndmask_b32_e64 v11, 0, -1, s[2:3]
	v_cmp_le_u32_e64 s[2:3], s18, v10
	s_nop 1
	v_cndmask_b32_e64 v10, 0, -1, s[2:3]
	v_cmp_eq_u32_e64 s[2:3], s19, v5
	s_nop 1
	v_cndmask_b32_e64 v5, v11, v10, s[2:3]
	v_lshl_add_u64 v[10:11], v[8:9], 0, 2
	v_cmp_ne_u32_e64 s[2:3], 0, v5
	s_nop 1
	v_cndmask_b32_e64 v5, v13, v11, s[2:3]
	v_cndmask_b32_e64 v11, 0, -1, vcc
	v_cmp_le_u32_e32 vcc, s18, v14
	s_nop 1
	v_cndmask_b32_e64 v13, 0, -1, vcc
	v_cmp_eq_u32_e32 vcc, s19, v1
	s_nop 1
	v_cndmask_b32_e32 v1, v11, v13, vcc
	v_cmp_ne_u32_e32 vcc, 0, v1
	v_cndmask_b32_e64 v1, v12, v10, s[2:3]
	s_nop 0
	v_cndmask_b32_e32 v9, v9, v5, vcc
	v_cndmask_b32_e32 v8, v8, v1, vcc
.LBB0_4:                                ;   in Loop: Header=BB0_2 Depth=1
	s_andn2_saveexec_b64 s[2:3], s[20:21]
	s_cbranch_execz .LBB0_6
; %bb.5:                                ;   in Loop: Header=BB0_2 Depth=1
	v_cvt_f32_u32_e32 v1, s18
	s_sub_i32 s20, 0, s18
	v_rcp_iflag_f32_e32 v1, v1
	s_nop 0
	v_mul_f32_e32 v1, 0x4f7ffffe, v1
	v_cvt_u32_f32_e32 v1, v1
	v_mul_lo_u32 v5, s20, v1
	v_mul_hi_u32 v5, v1, v5
	v_add_u32_e32 v1, v1, v5
	v_mul_hi_u32 v1, v6, v1
	v_mul_lo_u32 v5, v1, s18
	v_sub_u32_e32 v5, v6, v5
	v_add_u32_e32 v8, 1, v1
	v_subrev_u32_e32 v9, s18, v5
	v_cmp_le_u32_e32 vcc, s18, v5
	s_nop 1
	v_cndmask_b32_e32 v5, v5, v9, vcc
	v_cndmask_b32_e32 v1, v1, v8, vcc
	v_add_u32_e32 v8, 1, v1
	v_cmp_le_u32_e32 vcc, s18, v5
	v_mov_b32_e32 v9, v4
	s_nop 0
	v_cndmask_b32_e32 v8, v1, v8, vcc
.LBB0_6:                                ;   in Loop: Header=BB0_2 Depth=1
	s_or_b64 exec, exec, s[2:3]
	v_mad_u64_u32 v[10:11], s[2:3], v8, s18, 0
	s_load_dwordx2 s[2:3], s[12:13], 0x0
	v_mul_lo_u32 v1, v9, s18
	v_mul_lo_u32 v5, v8, s19
	v_add3_u32 v1, v11, v5, v1
	v_sub_co_u32_e32 v5, vcc, v6, v10
	s_add_u32 s14, s14, 1
	s_nop 0
	v_subb_co_u32_e32 v1, vcc, v7, v1, vcc
	s_addc_u32 s15, s15, 0
	s_waitcnt lgkmcnt(0)
	v_mul_lo_u32 v1, s2, v1
	v_mul_lo_u32 v6, s3, v5
	v_mad_u64_u32 v[2:3], s[2:3], s2, v5, v[2:3]
	s_add_u32 s12, s12, 8
	v_add3_u32 v3, v6, v3, v1
	s_addc_u32 s13, s13, 0
	v_mov_b64_e32 v[6:7], s[6:7]
	s_add_u32 s16, s16, 8
	v_cmp_ge_u64_e32 vcc, s[14:15], v[6:7]
	s_addc_u32 s17, s17, 0
	s_cbranch_vccnz .LBB0_9
; %bb.7:                                ;   in Loop: Header=BB0_2 Depth=1
	v_mov_b64_e32 v[6:7], v[8:9]
	s_branch .LBB0_2
.LBB0_8:
	v_mov_b64_e32 v[8:9], v[6:7]
.LBB0_9:
	s_lshl_b64 s[2:3], s[6:7], 3
	s_add_u32 s2, s10, s2
	s_addc_u32 s3, s11, s3
	s_load_dwordx2 s[6:7], s[2:3], 0x0
	s_load_dwordx2 s[10:11], s[0:1], 0x20
	s_mov_b32 s2, 0x2aaaaab
                                        ; implicit-def: $vgpr214
                                        ; implicit-def: $vgpr212
                                        ; implicit-def: $vgpr224
                                        ; implicit-def: $vgpr150
                                        ; implicit-def: $vgpr210
                                        ; implicit-def: $vgpr202
                                        ; implicit-def: $agpr12
                                        ; implicit-def: $vgpr204
                                        ; implicit-def: $vgpr196
                                        ; implicit-def: $vgpr198
                                        ; implicit-def: $vgpr194
                                        ; implicit-def: $vgpr158
                                        ; implicit-def: $vgpr192
                                        ; implicit-def: $vgpr190
	s_waitcnt lgkmcnt(0)
	v_mul_lo_u32 v1, s6, v9
	v_mul_lo_u32 v4, s7, v8
	v_mad_u64_u32 v[2:3], s[0:1], s6, v8, v[2:3]
	v_add3_u32 v3, v4, v3, v1
	v_mul_hi_u32 v1, v0, s2
	v_mul_u32_u24_e32 v1, 0x60, v1
	v_cmp_gt_u64_e64 s[0:1], s[10:11], v[8:9]
	v_cmp_le_u64_e32 vcc, s[10:11], v[8:9]
	v_sub_u32_e32 v184, v0, v1
	s_and_saveexec_b64 s[2:3], vcc
	s_xor_b64 s[2:3], exec, s[2:3]
	s_cbranch_execz .LBB0_11
; %bb.10:
	v_mov_b32_e32 v185, 0
	v_mov_b32_e32 v1, v185
	v_add_u32_e32 v0, 0x240, v184
	v_accvgpr_write_b32 a13, v1
	v_add_u32_e32 v214, 0x60, v184
	v_add_u32_e32 v212, 0xc0, v184
	;; [unrolled: 1-line block ×5, first 2 shown]
	v_or_b32_e32 v202, 0x180, v184
	v_add_u32_e32 v204, 0x2a0, v184
	v_or_b32_e32 v196, 0x300, v184
	v_add_u32_e32 v198, 0x360, v184
	v_add_u32_e32 v194, 0x420, v184
	v_or_b32_e32 v158, 0x480, v184
	v_add_u32_e32 v192, 0x4e0, v184
	v_add_u32_e32 v190, 0x540, v184
	v_mov_b32_e32 v215, v185
	v_mov_b32_e32 v213, v185
	;; [unrolled: 1-line block ×5, first 2 shown]
	v_accvgpr_write_b32 a12, v0
	v_mov_b32_e32 v205, v185
	v_mov_b32_e32 v197, v185
	;; [unrolled: 1-line block ×8, first 2 shown]
.LBB0_11:
	s_or_saveexec_b64 s[2:3], s[2:3]
	v_lshl_add_u64 v[186:187], v[2:3], 4, s[8:9]
	s_xor_b64 exec, exec, s[2:3]
	s_cbranch_execz .LBB0_13
; %bb.12:
	v_mov_b32_e32 v185, 0
	v_lshl_add_u64 v[104:105], v[184:185], 4, v[186:187]
	s_movk_i32 s6, 0x1000
	v_add_co_u32_e32 v24, vcc, s6, v104
	s_movk_i32 s6, 0x2000
	s_nop 0
	v_addc_co_u32_e32 v25, vcc, 0, v105, vcc
	v_add_co_u32_e32 v72, vcc, s6, v104
	s_movk_i32 s6, 0x3000
	s_nop 0
	v_addc_co_u32_e32 v73, vcc, 0, v105, vcc
	;; [unrolled: 4-line block ×6, first 2 shown]
	v_or_b32_e32 v202, 0x180, v184
	v_mov_b32_e32 v203, v185
	v_add_co_u32_e32 v88, vcc, s6, v104
	v_lshl_add_u64 v[26:27], v[202:203], 4, v[186:187]
	v_or_b32_e32 v158, 0x480, v184
	v_mov_b32_e32 v159, v185
	v_addc_co_u32_e32 v89, vcc, 0, v105, vcc
	s_mov_b32 s6, 0x8000
	global_load_dwordx4 v[0:3], v[104:105], off
	global_load_dwordx4 v[4:7], v[104:105], off offset:1536
	global_load_dwordx4 v[8:11], v[104:105], off offset:3072
	;; [unrolled: 1-line block ×3, first 2 shown]
	global_load_dwordx4 v[16:19], v[26:27], off
	global_load_dwordx4 v[20:23], v[24:25], off offset:3584
	v_or_b32_e32 v196, 0x300, v184
	v_or_b32_e32 v24, 0x600, v184
	v_mov_b32_e32 v197, v185
	v_mov_b32_e32 v25, v185
	v_lshl_add_u64 v[80:81], v[158:159], 4, v[186:187]
	v_add_co_u32_e32 v96, vcc, s6, v104
	v_lshl_add_u64 v[74:75], v[196:197], 4, v[186:187]
	v_lshl_add_u64 v[84:85], v[24:25], 4, v[186:187]
	global_load_dwordx4 v[24:27], v[72:73], off offset:1024
	global_load_dwordx4 v[28:31], v[72:73], off offset:2560
	global_load_dwordx4 v[32:35], v[74:75], off
	global_load_dwordx4 v[36:39], v[76:77], off offset:1536
	global_load_dwordx4 v[40:43], v[76:77], off offset:3072
	global_load_dwordx4 v[44:47], v[78:79], off offset:512
	global_load_dwordx4 v[48:51], v[80:81], off
	global_load_dwordx4 v[52:55], v[78:79], off offset:3584
	global_load_dwordx4 v[56:59], v[82:83], off offset:1024
	global_load_dwordx4 v[60:63], v[82:83], off offset:2560
	global_load_dwordx4 v[64:67], v[84:85], off
	global_load_dwordx4 v[68:71], v[86:87], off offset:1536
	v_or_b32_e32 v80, 0x780, v184
	v_mov_b32_e32 v81, v185
	v_addc_co_u32_e32 v97, vcc, 0, v105, vcc
	s_mov_b32 s6, 0x9000
	v_lshl_add_u64 v[90:91], v[80:81], 4, v[186:187]
	v_add_co_u32_e32 v112, vcc, s6, v104
	global_load_dwordx4 v[72:75], v[86:87], off offset:3072
	global_load_dwordx4 v[76:79], v[88:89], off offset:512
	global_load_dwordx4 v[80:83], v[90:91], off
	s_nop 0
	global_load_dwordx4 v[84:87], v[88:89], off offset:3584
	s_nop 0
	global_load_dwordx4 v[88:91], v[96:97], off offset:1024
	global_load_dwordx4 v[92:95], v[96:97], off offset:2560
	v_or_b32_e32 v96, 0x900, v184
	v_mov_b32_e32 v97, v185
	v_addc_co_u32_e32 v113, vcc, 0, v105, vcc
	v_lshl_add_u64 v[106:107], v[96:97], 4, v[186:187]
	v_add_co_u32_e32 v116, vcc, 0xa000, v104
	global_load_dwordx4 v[96:99], v[106:107], off
	global_load_dwordx4 v[100:103], v[112:113], off offset:1536
	v_addc_co_u32_e32 v117, vcc, 0, v105, vcc
	global_load_dwordx4 v[104:107], v[112:113], off offset:3072
	global_load_dwordx4 v[108:111], v[116:117], off offset:512
	v_or_b32_e32 v112, 0xa80, v184
	v_mov_b32_e32 v113, v185
	v_lshl_add_u64 v[112:113], v[112:113], 4, v[186:187]
	global_load_dwordx4 v[112:115], v[112:113], off
	s_nop 0
	global_load_dwordx4 v[116:119], v[116:117], off offset:3584
	v_lshl_add_u32 v120, v184, 4, 0
	v_add_u32_e32 v214, 0x60, v184
	v_mov_b32_e32 v215, v185
	v_add_u32_e32 v212, 0xc0, v184
	v_mov_b32_e32 v213, v185
	;; [unrolled: 2-line block ×5, first 2 shown]
	v_add_u32_e32 v198, 0x360, v184
	s_waitcnt vmcnt(29)
	ds_write_b128 v120, v[0:3]
	s_waitcnt vmcnt(28)
	ds_write_b128 v120, v[4:7] offset:1536
	s_waitcnt vmcnt(27)
	ds_write_b128 v120, v[8:11] offset:3072
	;; [unrolled: 2-line block ×18, first 2 shown]
	v_mov_b32_e32 v1, v185
	v_add_u32_e32 v0, 0x240, v184
	v_accvgpr_write_b32 a13, v1
	v_accvgpr_write_b32 a12, v0
	v_mov_b32_e32 v199, v185
	v_add_u32_e32 v150, 0x3c0, v184
	v_mov_b32_e32 v151, v185
	v_add_u32_e32 v194, 0x420, v184
	;; [unrolled: 2-line block ×4, first 2 shown]
	v_mov_b32_e32 v191, v185
	s_waitcnt vmcnt(10)
	ds_write_b128 v120, v[76:79] offset:29184
	s_waitcnt vmcnt(9)
	ds_write_b128 v120, v[80:83] offset:30720
	;; [unrolled: 2-line block ×11, first 2 shown]
.LBB0_13:
	s_or_b64 exec, exec, s[2:3]
	v_lshlrev_b32_e32 v227, 4, v184
	v_add_u32_e32 v226, 0, v227
	s_waitcnt lgkmcnt(0)
	s_barrier
	ds_read_b128 v[56:59], v226
	ds_read_b128 v[80:83], v226 offset:1536
	ds_read_b128 v[46:49], v226 offset:9216
	ds_read_b128 v[106:109], v226 offset:10752
	ds_read_b128 v[50:53], v226 offset:18432
	ds_read_b128 v[110:113], v226 offset:19968
	ds_read_b128 v[60:63], v226 offset:27648
	ds_read_b128 v[114:117], v226 offset:29184
	ds_read_b128 v[122:125], v226 offset:36864
	ds_read_b128 v[118:121], v226 offset:38400
	ds_read_b128 v[42:45], v226 offset:4608
	ds_read_b128 v[0:3], v226 offset:3072
	ds_read_b128 v[102:105], v226 offset:6144
	ds_read_b128 v[4:7], v226 offset:7680
	ds_read_b128 v[8:11], v226 offset:13824
	ds_read_b128 v[64:67], v226 offset:12288
	ds_read_b128 v[84:87], v226 offset:15360
	ds_read_b128 v[20:23], v226 offset:16896
	ds_read_b128 v[12:15], v226 offset:23040
	ds_read_b128 v[68:71], v226 offset:21504
	ds_read_b128 v[88:91], v226 offset:24576
	ds_read_b128 v[24:27], v226 offset:26112
	ds_read_b128 v[16:19], v226 offset:32256
	ds_read_b128 v[72:75], v226 offset:30720
	ds_read_b128 v[92:95], v226 offset:33792
	ds_read_b128 v[28:31], v226 offset:35328
	ds_read_b128 v[36:39], v226 offset:41472
	ds_read_b128 v[76:79], v226 offset:39936
	ds_read_b128 v[96:99], v226 offset:43008
	ds_read_b128 v[32:35], v226 offset:44544
	s_waitcnt lgkmcnt(14)
	v_add_f64 v[40:41], v[56:57], v[46:47]
	v_add_f64 v[40:41], v[40:41], v[50:51]
	v_add_f64 v[40:41], v[40:41], v[60:61]
	v_add_f64 v[100:101], v[40:41], v[122:123]
	v_add_f64 v[40:41], v[50:51], v[60:61]
	s_mov_b32 s8, 0x134454ff
	v_fma_f64 v[54:55], -0.5, v[40:41], v[56:57]
	v_add_f64 v[40:41], v[48:49], -v[124:125]
	s_mov_b32 s9, 0xbfee6f0e
	s_mov_b32 s10, 0x4755a5e
	;; [unrolled: 1-line block ×4, first 2 shown]
	v_fma_f64 v[128:129], s[8:9], v[40:41], v[54:55]
	v_add_f64 v[126:127], v[52:53], -v[62:63]
	s_mov_b32 s11, 0xbfe2cf23
	v_add_f64 v[130:131], v[46:47], -v[50:51]
	v_add_f64 v[132:133], v[122:123], -v[60:61]
	s_mov_b32 s12, 0x372fe950
	v_fmac_f64_e32 v[54:55], s[6:7], v[40:41]
	s_mov_b32 s3, 0x3fe2cf23
	s_mov_b32 s2, s10
	v_fmac_f64_e32 v[128:129], s[10:11], v[126:127]
	v_add_f64 v[130:131], v[130:131], v[132:133]
	s_mov_b32 s13, 0x3fd3c6ef
	v_fmac_f64_e32 v[54:55], s[2:3], v[126:127]
	v_fmac_f64_e32 v[128:129], s[12:13], v[130:131]
	;; [unrolled: 1-line block ×3, first 2 shown]
	v_add_f64 v[130:131], v[46:47], v[122:123]
	v_fmac_f64_e32 v[56:57], -0.5, v[130:131]
	v_fma_f64 v[132:133], s[6:7], v[126:127], v[56:57]
	v_fmac_f64_e32 v[56:57], s[8:9], v[126:127]
	v_fmac_f64_e32 v[132:133], s[10:11], v[40:41]
	;; [unrolled: 1-line block ×3, first 2 shown]
	v_add_f64 v[40:41], v[58:59], v[48:49]
	v_add_f64 v[130:131], v[50:51], -v[46:47]
	v_add_f64 v[134:135], v[60:61], -v[122:123]
	v_add_f64 v[40:41], v[40:41], v[52:53]
	v_add_f64 v[130:131], v[130:131], v[134:135]
	;; [unrolled: 1-line block ×3, first 2 shown]
	v_fmac_f64_e32 v[132:133], s[12:13], v[130:131]
	v_fmac_f64_e32 v[56:57], s[12:13], v[130:131]
	v_add_f64 v[130:131], v[40:41], v[124:125]
	v_add_f64 v[40:41], v[52:53], v[62:63]
	v_fma_f64 v[126:127], -0.5, v[40:41], v[58:59]
	v_add_f64 v[40:41], v[46:47], -v[122:123]
	v_fma_f64 v[46:47], s[6:7], v[40:41], v[126:127]
	v_add_f64 v[50:51], v[50:51], -v[60:61]
	v_add_f64 v[60:61], v[48:49], -v[52:53]
	;; [unrolled: 1-line block ×3, first 2 shown]
	v_fmac_f64_e32 v[126:127], s[8:9], v[40:41]
	v_fmac_f64_e32 v[46:47], s[2:3], v[50:51]
	v_add_f64 v[60:61], v[60:61], v[122:123]
	v_fmac_f64_e32 v[126:127], s[10:11], v[50:51]
	v_fmac_f64_e32 v[46:47], s[12:13], v[60:61]
	;; [unrolled: 1-line block ×3, first 2 shown]
	v_add_f64 v[60:61], v[48:49], v[124:125]
	v_fmac_f64_e32 v[58:59], -0.5, v[60:61]
	v_fma_f64 v[122:123], s[8:9], v[50:51], v[58:59]
	v_fmac_f64_e32 v[58:59], s[6:7], v[50:51]
	v_fmac_f64_e32 v[122:123], s[2:3], v[40:41]
	;; [unrolled: 1-line block ×3, first 2 shown]
	v_add_f64 v[40:41], v[42:43], v[8:9]
	v_add_f64 v[48:49], v[52:53], -v[48:49]
	v_add_f64 v[52:53], v[62:63], -v[124:125]
	s_waitcnt lgkmcnt(11)
	v_add_f64 v[40:41], v[40:41], v[12:13]
	v_add_f64 v[48:49], v[48:49], v[52:53]
	s_waitcnt lgkmcnt(7)
	v_add_f64 v[40:41], v[40:41], v[16:17]
	v_fmac_f64_e32 v[122:123], s[12:13], v[48:49]
	v_fmac_f64_e32 v[58:59], s[12:13], v[48:49]
	s_waitcnt lgkmcnt(3)
	v_add_f64 v[48:49], v[40:41], v[36:37]
	v_add_f64 v[40:41], v[12:13], v[16:17]
	v_fma_f64 v[50:51], -0.5, v[40:41], v[42:43]
	v_add_f64 v[40:41], v[10:11], -v[38:39]
	v_fma_f64 v[52:53], s[8:9], v[40:41], v[50:51]
	v_add_f64 v[60:61], v[14:15], -v[18:19]
	v_add_f64 v[62:63], v[8:9], -v[12:13]
	;; [unrolled: 1-line block ×3, first 2 shown]
	v_fmac_f64_e32 v[50:51], s[6:7], v[40:41]
	v_fmac_f64_e32 v[52:53], s[10:11], v[60:61]
	v_add_f64 v[62:63], v[62:63], v[124:125]
	v_fmac_f64_e32 v[50:51], s[2:3], v[60:61]
	v_fmac_f64_e32 v[52:53], s[12:13], v[62:63]
	;; [unrolled: 1-line block ×3, first 2 shown]
	v_add_f64 v[62:63], v[8:9], v[36:37]
	v_fmac_f64_e32 v[42:43], -0.5, v[62:63]
	v_fma_f64 v[124:125], s[6:7], v[60:61], v[42:43]
	v_fmac_f64_e32 v[42:43], s[8:9], v[60:61]
	v_fmac_f64_e32 v[124:125], s[10:11], v[40:41]
	;; [unrolled: 1-line block ×3, first 2 shown]
	v_add_f64 v[40:41], v[44:45], v[10:11]
	v_add_f64 v[62:63], v[12:13], -v[8:9]
	v_add_f64 v[134:135], v[16:17], -v[36:37]
	v_add_f64 v[40:41], v[40:41], v[14:15]
	v_add_f64 v[62:63], v[62:63], v[134:135]
	;; [unrolled: 1-line block ×3, first 2 shown]
	v_fmac_f64_e32 v[124:125], s[12:13], v[62:63]
	v_fmac_f64_e32 v[42:43], s[12:13], v[62:63]
	v_add_f64 v[62:63], v[40:41], v[38:39]
	v_add_f64 v[40:41], v[14:15], v[18:19]
	v_fma_f64 v[60:61], -0.5, v[40:41], v[44:45]
	v_add_f64 v[8:9], v[8:9], -v[36:37]
	v_fma_f64 v[134:135], s[6:7], v[8:9], v[60:61]
	v_add_f64 v[12:13], v[12:13], -v[16:17]
	v_add_f64 v[16:17], v[10:11], -v[14:15]
	;; [unrolled: 1-line block ×3, first 2 shown]
	v_fmac_f64_e32 v[60:61], s[8:9], v[8:9]
	v_fmac_f64_e32 v[134:135], s[2:3], v[12:13]
	v_add_f64 v[16:17], v[16:17], v[36:37]
	v_fmac_f64_e32 v[60:61], s[10:11], v[12:13]
	v_fmac_f64_e32 v[134:135], s[12:13], v[16:17]
	;; [unrolled: 1-line block ×3, first 2 shown]
	v_add_f64 v[16:17], v[10:11], v[38:39]
	v_fmac_f64_e32 v[44:45], -0.5, v[16:17]
	v_fma_f64 v[136:137], s[8:9], v[12:13], v[44:45]
	v_add_f64 v[10:11], v[14:15], -v[10:11]
	v_add_f64 v[14:15], v[18:19], -v[38:39]
	v_fmac_f64_e32 v[136:137], s[2:3], v[8:9]
	v_add_f64 v[10:11], v[10:11], v[14:15]
	v_fmac_f64_e32 v[44:45], s[6:7], v[12:13]
	s_mov_b32 s18, 0x9b97f4a8
	v_fmac_f64_e32 v[136:137], s[12:13], v[10:11]
	v_fmac_f64_e32 v[44:45], s[10:11], v[8:9]
	v_mul_f64 v[138:139], v[134:135], s[10:11]
	s_mov_b32 s19, 0x3fe9e377
	v_mul_f64 v[146:147], v[52:53], s[2:3]
	v_fmac_f64_e32 v[44:45], s[12:13], v[10:11]
	v_add_f64 v[16:17], v[100:101], v[48:49]
	v_fmac_f64_e32 v[138:139], s[18:19], v[52:53]
	v_mul_f64 v[140:141], v[136:137], s[8:9]
	s_mov_b32 s17, 0xbfd3c6ef
	s_mov_b32 s16, s12
	;; [unrolled: 1-line block ×4, first 2 shown]
	v_fmac_f64_e32 v[146:147], s[18:19], v[134:135]
	v_mul_f64 v[134:135], v[136:137], s[12:13]
	v_add_f64 v[52:53], v[100:101], -v[48:49]
	v_add_f64 v[100:101], v[80:81], v[106:107]
	v_fmac_f64_e32 v[140:141], s[12:13], v[124:125]
	v_mul_f64 v[142:143], v[44:45], s[8:9]
	v_mul_f64 v[144:145], v[60:61], s[10:11]
	v_fmac_f64_e32 v[134:135], s[6:7], v[124:125]
	v_mul_f64 v[124:125], v[44:45], s[16:17]
	v_mul_f64 v[136:137], v[60:61], s[14:15]
	v_add_f64 v[100:101], v[100:101], v[110:111]
	v_fmac_f64_e32 v[142:143], s[16:17], v[42:43]
	v_fmac_f64_e32 v[144:145], s[14:15], v[50:51]
	;; [unrolled: 1-line block ×4, first 2 shown]
	v_add_f64 v[100:101], v[100:101], v[114:115]
	v_add_f64 v[40:41], v[56:57], v[142:143]
	;; [unrolled: 1-line block ×6, first 2 shown]
	v_add_f64 v[60:61], v[56:57], -v[142:143]
	v_add_f64 v[56:57], v[54:55], -v[144:145]
	;; [unrolled: 1-line block ×5, first 2 shown]
	v_add_f64 v[126:127], v[100:101], v[118:119]
	v_add_f64 v[100:101], v[110:111], v[114:115]
	;; [unrolled: 1-line block ×4, first 2 shown]
	v_add_f64 v[50:51], v[46:47], -v[146:147]
	v_add_f64 v[46:47], v[122:123], -v[134:135]
	v_fma_f64 v[122:123], -0.5, v[100:101], v[80:81]
	v_add_f64 v[100:101], v[108:109], -v[120:121]
	v_add_f64 v[12:13], v[128:129], v[138:139]
	v_add_f64 v[8:9], v[132:133], v[140:141]
	v_add_f64 v[48:49], v[128:129], -v[138:139]
	v_add_f64 v[44:45], v[132:133], -v[140:141]
	v_fma_f64 v[130:131], s[8:9], v[100:101], v[122:123]
	v_add_f64 v[124:125], v[112:113], -v[116:117]
	v_add_f64 v[128:129], v[106:107], -v[110:111]
	;; [unrolled: 1-line block ×3, first 2 shown]
	v_fmac_f64_e32 v[122:123], s[6:7], v[100:101]
	v_fmac_f64_e32 v[130:131], s[10:11], v[124:125]
	v_add_f64 v[128:129], v[128:129], v[132:133]
	v_fmac_f64_e32 v[122:123], s[2:3], v[124:125]
	v_fmac_f64_e32 v[130:131], s[12:13], v[128:129]
	;; [unrolled: 1-line block ×3, first 2 shown]
	v_add_f64 v[128:129], v[106:107], v[118:119]
	v_fmac_f64_e32 v[80:81], -0.5, v[128:129]
	v_fma_f64 v[132:133], s[6:7], v[124:125], v[80:81]
	v_fmac_f64_e32 v[80:81], s[8:9], v[124:125]
	v_fmac_f64_e32 v[132:133], s[10:11], v[100:101]
	;; [unrolled: 1-line block ×3, first 2 shown]
	v_add_f64 v[100:101], v[82:83], v[108:109]
	v_add_f64 v[128:129], v[110:111], -v[106:107]
	v_add_f64 v[134:135], v[114:115], -v[118:119]
	v_add_f64 v[100:101], v[100:101], v[112:113]
	v_add_f64 v[128:129], v[128:129], v[134:135]
	;; [unrolled: 1-line block ×3, first 2 shown]
	v_fmac_f64_e32 v[132:133], s[12:13], v[128:129]
	v_fmac_f64_e32 v[80:81], s[12:13], v[128:129]
	v_add_f64 v[128:129], v[100:101], v[120:121]
	v_add_f64 v[100:101], v[112:113], v[116:117]
	v_fma_f64 v[124:125], -0.5, v[100:101], v[82:83]
	v_add_f64 v[100:101], v[106:107], -v[118:119]
	v_fma_f64 v[106:107], s[6:7], v[100:101], v[124:125]
	v_add_f64 v[110:111], v[110:111], -v[114:115]
	v_add_f64 v[114:115], v[108:109], -v[112:113]
	;; [unrolled: 1-line block ×3, first 2 shown]
	v_fmac_f64_e32 v[124:125], s[8:9], v[100:101]
	v_fmac_f64_e32 v[106:107], s[2:3], v[110:111]
	v_add_f64 v[114:115], v[114:115], v[118:119]
	v_fmac_f64_e32 v[124:125], s[10:11], v[110:111]
	v_fmac_f64_e32 v[106:107], s[12:13], v[114:115]
	;; [unrolled: 1-line block ×3, first 2 shown]
	v_add_f64 v[114:115], v[108:109], v[120:121]
	v_fmac_f64_e32 v[82:83], -0.5, v[114:115]
	v_fma_f64 v[118:119], s[8:9], v[110:111], v[82:83]
	v_fmac_f64_e32 v[82:83], s[6:7], v[110:111]
	v_fmac_f64_e32 v[118:119], s[2:3], v[100:101]
	;; [unrolled: 1-line block ×3, first 2 shown]
	v_add_f64 v[100:101], v[102:103], v[84:85]
	v_add_f64 v[108:109], v[112:113], -v[108:109]
	v_add_f64 v[112:113], v[116:117], -v[120:121]
	v_add_f64 v[100:101], v[100:101], v[88:89]
	v_add_f64 v[108:109], v[108:109], v[112:113]
	;; [unrolled: 1-line block ×3, first 2 shown]
	v_fmac_f64_e32 v[118:119], s[12:13], v[108:109]
	v_fmac_f64_e32 v[82:83], s[12:13], v[108:109]
	s_waitcnt lgkmcnt(1)
	v_add_f64 v[108:109], v[100:101], v[96:97]
	v_add_f64 v[100:101], v[88:89], v[92:93]
	v_fma_f64 v[110:111], -0.5, v[100:101], v[102:103]
	v_add_f64 v[100:101], v[86:87], -v[98:99]
	v_fma_f64 v[112:113], s[8:9], v[100:101], v[110:111]
	v_add_f64 v[114:115], v[90:91], -v[94:95]
	v_add_f64 v[116:117], v[84:85], -v[88:89]
	;; [unrolled: 1-line block ×3, first 2 shown]
	v_fmac_f64_e32 v[110:111], s[6:7], v[100:101]
	v_fmac_f64_e32 v[112:113], s[10:11], v[114:115]
	v_add_f64 v[116:117], v[116:117], v[120:121]
	v_fmac_f64_e32 v[110:111], s[2:3], v[114:115]
	v_fmac_f64_e32 v[112:113], s[12:13], v[116:117]
	v_fmac_f64_e32 v[110:111], s[12:13], v[116:117]
	v_add_f64 v[116:117], v[84:85], v[96:97]
	v_fmac_f64_e32 v[102:103], -0.5, v[116:117]
	v_fma_f64 v[116:117], s[6:7], v[114:115], v[102:103]
	v_fmac_f64_e32 v[102:103], s[8:9], v[114:115]
	v_fmac_f64_e32 v[116:117], s[10:11], v[100:101]
	;; [unrolled: 1-line block ×3, first 2 shown]
	v_add_f64 v[100:101], v[104:105], v[86:87]
	v_add_f64 v[100:101], v[100:101], v[90:91]
	v_add_f64 v[120:121], v[88:89], -v[84:85]
	v_add_f64 v[134:135], v[92:93], -v[96:97]
	v_add_f64 v[100:101], v[100:101], v[94:95]
	v_add_f64 v[120:121], v[120:121], v[134:135]
	;; [unrolled: 1-line block ×4, first 2 shown]
	v_fmac_f64_e32 v[116:117], s[12:13], v[120:121]
	v_fmac_f64_e32 v[102:103], s[12:13], v[120:121]
	v_fma_f64 v[120:121], -0.5, v[100:101], v[104:105]
	v_add_f64 v[84:85], v[84:85], -v[96:97]
	v_fma_f64 v[134:135], s[6:7], v[84:85], v[120:121]
	v_add_f64 v[88:89], v[88:89], -v[92:93]
	v_add_f64 v[92:93], v[86:87], -v[90:91]
	;; [unrolled: 1-line block ×3, first 2 shown]
	v_fmac_f64_e32 v[120:121], s[8:9], v[84:85]
	v_fmac_f64_e32 v[134:135], s[2:3], v[88:89]
	v_add_f64 v[92:93], v[92:93], v[96:97]
	v_fmac_f64_e32 v[120:121], s[10:11], v[88:89]
	v_fmac_f64_e32 v[134:135], s[12:13], v[92:93]
	;; [unrolled: 1-line block ×3, first 2 shown]
	v_add_f64 v[92:93], v[86:87], v[98:99]
	v_fmac_f64_e32 v[104:105], -0.5, v[92:93]
	v_fma_f64 v[136:137], s[8:9], v[88:89], v[104:105]
	v_add_f64 v[86:87], v[90:91], -v[86:87]
	v_add_f64 v[90:91], v[94:95], -v[98:99]
	v_fmac_f64_e32 v[104:105], s[6:7], v[88:89]
	v_fmac_f64_e32 v[136:137], s[2:3], v[84:85]
	v_add_f64 v[86:87], v[86:87], v[90:91]
	v_fmac_f64_e32 v[104:105], s[10:11], v[84:85]
	v_fmac_f64_e32 v[136:137], s[12:13], v[86:87]
	;; [unrolled: 1-line block ×3, first 2 shown]
	v_mul_f64 v[146:147], v[112:113], s[2:3]
	v_mul_f64 v[138:139], v[134:135], s[10:11]
	;; [unrolled: 1-line block ×4, first 2 shown]
	v_fmac_f64_e32 v[146:147], s[18:19], v[134:135]
	v_mul_f64 v[134:135], v[136:137], s[12:13]
	v_mul_f64 v[136:137], v[104:105], s[16:17]
	;; [unrolled: 1-line block ×4, first 2 shown]
	v_fmac_f64_e32 v[134:135], s[6:7], v[116:117]
	v_fmac_f64_e32 v[136:137], s[6:7], v[102:103]
	;; [unrolled: 1-line block ×5, first 2 shown]
	v_add_f64 v[90:91], v[106:107], v[146:147]
	v_add_f64 v[86:87], v[118:119], v[134:135]
	;; [unrolled: 1-line block ×4, first 2 shown]
	v_add_f64 v[110:111], v[106:107], -v[146:147]
	v_add_f64 v[106:107], v[118:119], -v[134:135]
	;; [unrolled: 1-line block ×4, first 2 shown]
	v_add_f64 v[120:121], v[0:1], v[64:65]
	v_add_f64 v[120:121], v[120:121], v[68:69]
	;; [unrolled: 1-line block ×5, first 2 shown]
	v_fmac_f64_e32 v[138:139], s[18:19], v[112:113]
	v_fmac_f64_e32 v[140:141], s[12:13], v[116:117]
	v_add_f64 v[100:101], v[80:81], v[142:143]
	v_add_f64 v[96:97], v[122:123], v[144:145]
	v_add_f64 v[116:117], v[80:81], -v[142:143]
	v_add_f64 v[80:81], v[122:123], -v[144:145]
	v_fma_f64 v[122:123], -0.5, v[120:121], v[0:1]
	v_add_f64 v[120:121], v[66:67], -v[78:79]
	v_add_f64 v[92:93], v[126:127], v[108:109]
	v_add_f64 v[88:89], v[130:131], v[138:139]
	;; [unrolled: 1-line block ×4, first 2 shown]
	v_add_f64 v[112:113], v[126:127], -v[108:109]
	v_add_f64 v[108:109], v[130:131], -v[138:139]
	;; [unrolled: 1-line block ×4, first 2 shown]
	v_fma_f64 v[128:129], s[8:9], v[120:121], v[122:123]
	v_add_f64 v[126:127], v[70:71], -v[74:75]
	v_add_f64 v[130:131], v[64:65], -v[68:69]
	;; [unrolled: 1-line block ×3, first 2 shown]
	v_fmac_f64_e32 v[122:123], s[6:7], v[120:121]
	v_fmac_f64_e32 v[128:129], s[10:11], v[126:127]
	v_add_f64 v[130:131], v[130:131], v[132:133]
	v_fmac_f64_e32 v[122:123], s[2:3], v[126:127]
	v_fmac_f64_e32 v[128:129], s[12:13], v[130:131]
	;; [unrolled: 1-line block ×3, first 2 shown]
	v_add_f64 v[130:131], v[64:65], v[76:77]
	v_fmac_f64_e32 v[0:1], -0.5, v[130:131]
	v_fma_f64 v[132:133], s[6:7], v[126:127], v[0:1]
	v_fmac_f64_e32 v[0:1], s[8:9], v[126:127]
	v_fmac_f64_e32 v[132:133], s[10:11], v[120:121]
	;; [unrolled: 1-line block ×3, first 2 shown]
	v_add_f64 v[120:121], v[2:3], v[66:67]
	v_add_f64 v[120:121], v[120:121], v[70:71]
	;; [unrolled: 1-line block ×3, first 2 shown]
	v_add_f64 v[130:131], v[68:69], -v[64:65]
	v_add_f64 v[134:135], v[72:73], -v[76:77]
	v_add_f64 v[126:127], v[120:121], v[78:79]
	v_add_f64 v[120:121], v[70:71], v[74:75]
	v_add_f64 v[130:131], v[130:131], v[134:135]
	v_fma_f64 v[120:121], -0.5, v[120:121], v[2:3]
	v_add_f64 v[64:65], v[64:65], -v[76:77]
	v_fmac_f64_e32 v[132:133], s[12:13], v[130:131]
	v_fmac_f64_e32 v[0:1], s[12:13], v[130:131]
	v_fma_f64 v[130:131], s[6:7], v[64:65], v[120:121]
	v_add_f64 v[68:69], v[68:69], -v[72:73]
	v_add_f64 v[72:73], v[66:67], -v[70:71]
	v_add_f64 v[76:77], v[78:79], -v[74:75]
	v_fmac_f64_e32 v[120:121], s[8:9], v[64:65]
	v_fmac_f64_e32 v[130:131], s[2:3], v[68:69]
	v_add_f64 v[72:73], v[72:73], v[76:77]
	v_fmac_f64_e32 v[120:121], s[10:11], v[68:69]
	v_fmac_f64_e32 v[130:131], s[12:13], v[72:73]
	;; [unrolled: 1-line block ×3, first 2 shown]
	v_add_f64 v[72:73], v[66:67], v[78:79]
	v_fmac_f64_e32 v[2:3], -0.5, v[72:73]
	v_fma_f64 v[134:135], s[8:9], v[68:69], v[2:3]
	v_fmac_f64_e32 v[2:3], s[6:7], v[68:69]
	v_fmac_f64_e32 v[134:135], s[2:3], v[64:65]
	v_fmac_f64_e32 v[2:3], s[10:11], v[64:65]
	v_add_f64 v[64:65], v[4:5], v[20:21]
	v_add_f64 v[64:65], v[64:65], v[24:25]
	;; [unrolled: 1-line block ×3, first 2 shown]
	v_add_f64 v[66:67], v[70:71], -v[66:67]
	v_add_f64 v[70:71], v[74:75], -v[78:79]
	s_waitcnt lgkmcnt(0)
	v_add_f64 v[68:69], v[64:65], v[32:33]
	v_add_f64 v[64:65], v[24:25], v[28:29]
	;; [unrolled: 1-line block ×3, first 2 shown]
	v_fma_f64 v[70:71], -0.5, v[64:65], v[4:5]
	v_add_f64 v[64:65], v[22:23], -v[34:35]
	v_fmac_f64_e32 v[134:135], s[12:13], v[66:67]
	v_fmac_f64_e32 v[2:3], s[12:13], v[66:67]
	v_fma_f64 v[66:67], s[8:9], v[64:65], v[70:71]
	v_add_f64 v[72:73], v[26:27], -v[30:31]
	v_add_f64 v[74:75], v[20:21], -v[24:25]
	;; [unrolled: 1-line block ×3, first 2 shown]
	v_fmac_f64_e32 v[70:71], s[6:7], v[64:65]
	v_fmac_f64_e32 v[66:67], s[10:11], v[72:73]
	v_add_f64 v[74:75], v[74:75], v[76:77]
	v_fmac_f64_e32 v[70:71], s[2:3], v[72:73]
	v_fmac_f64_e32 v[66:67], s[12:13], v[74:75]
	;; [unrolled: 1-line block ×3, first 2 shown]
	v_add_f64 v[74:75], v[20:21], v[32:33]
	v_fmac_f64_e32 v[4:5], -0.5, v[74:75]
	v_fma_f64 v[76:77], s[6:7], v[72:73], v[4:5]
	v_fmac_f64_e32 v[4:5], s[8:9], v[72:73]
	v_fmac_f64_e32 v[76:77], s[10:11], v[64:65]
	;; [unrolled: 1-line block ×3, first 2 shown]
	v_add_f64 v[64:65], v[6:7], v[22:23]
	v_add_f64 v[74:75], v[24:25], -v[20:21]
	v_add_f64 v[78:79], v[28:29], -v[32:33]
	v_add_f64 v[64:65], v[64:65], v[26:27]
	v_add_f64 v[74:75], v[74:75], v[78:79]
	v_add_f64 v[64:65], v[64:65], v[30:31]
	v_fmac_f64_e32 v[76:77], s[12:13], v[74:75]
	v_fmac_f64_e32 v[4:5], s[12:13], v[74:75]
	v_add_f64 v[74:75], v[64:65], v[34:35]
	v_add_f64 v[64:65], v[26:27], v[30:31]
	v_fma_f64 v[72:73], -0.5, v[64:65], v[6:7]
	v_add_f64 v[20:21], v[20:21], -v[32:33]
	v_fma_f64 v[78:79], s[6:7], v[20:21], v[72:73]
	v_add_f64 v[24:25], v[24:25], -v[28:29]
	v_add_f64 v[28:29], v[22:23], -v[26:27]
	;; [unrolled: 1-line block ×3, first 2 shown]
	v_fmac_f64_e32 v[72:73], s[8:9], v[20:21]
	v_fmac_f64_e32 v[78:79], s[2:3], v[24:25]
	v_add_f64 v[28:29], v[28:29], v[32:33]
	v_fmac_f64_e32 v[72:73], s[10:11], v[24:25]
	v_fmac_f64_e32 v[78:79], s[12:13], v[28:29]
	;; [unrolled: 1-line block ×3, first 2 shown]
	v_add_f64 v[28:29], v[22:23], v[34:35]
	v_fmac_f64_e32 v[6:7], -0.5, v[28:29]
	v_fma_f64 v[136:137], s[8:9], v[24:25], v[6:7]
	v_add_f64 v[22:23], v[26:27], -v[22:23]
	v_add_f64 v[26:27], v[30:31], -v[34:35]
	v_fmac_f64_e32 v[6:7], s[6:7], v[24:25]
	v_fmac_f64_e32 v[136:137], s[2:3], v[20:21]
	v_add_f64 v[22:23], v[22:23], v[26:27]
	v_fmac_f64_e32 v[6:7], s[10:11], v[20:21]
	v_fmac_f64_e32 v[136:137], s[12:13], v[22:23]
	;; [unrolled: 1-line block ×3, first 2 shown]
	v_mul_f64 v[146:147], v[66:67], s[2:3]
	v_mul_f64 v[138:139], v[78:79], s[10:11]
	;; [unrolled: 1-line block ×3, first 2 shown]
	v_fmac_f64_e32 v[146:147], s[18:19], v[78:79]
	v_mul_f64 v[78:79], v[136:137], s[12:13]
	v_mul_f64 v[148:149], v[6:7], s[16:17]
	;; [unrolled: 1-line block ×3, first 2 shown]
	v_fmac_f64_e32 v[78:79], s[6:7], v[76:77]
	v_fmac_f64_e32 v[148:149], s[6:7], v[4:5]
	;; [unrolled: 1-line block ×4, first 2 shown]
	v_mul_f64 v[142:143], v[6:7], s[8:9]
	v_add_f64 v[22:23], v[134:135], v[78:79]
	v_add_f64 v[66:67], v[2:3], v[148:149]
	v_add_f64 v[34:35], v[120:121], v[136:137]
	v_add_f64 v[6:7], v[134:135], -v[78:79]
	v_add_f64 v[78:79], v[2:3], -v[148:149]
	;; [unrolled: 1-line block ×3, first 2 shown]
	v_mul_u32_u24_e32 v120, 10, v184
	v_lshl_add_u32 v120, v120, 4, 0
	v_mul_f64 v[144:145], v[72:73], s[10:11]
	s_barrier
	ds_write_b128 v120, v[16:19]
	ds_write_b128 v120, v[12:15] offset:16
	ds_write_b128 v120, v[8:11] offset:32
	;; [unrolled: 1-line block ×9, first 2 shown]
	v_mul_i32_i24_e32 v8, 10, v214
	v_fmac_f64_e32 v[142:143], s[16:17], v[4:5]
	v_fmac_f64_e32 v[144:145], s[14:15], v[70:71]
	v_lshl_add_u32 v229, v8, 4, 0
	v_mul_i32_i24_e32 v8, 10, v212
	v_add_f64 v[28:29], v[124:125], v[68:69]
	v_fmac_f64_e32 v[140:141], s[12:13], v[76:77]
	v_add_f64 v[64:65], v[0:1], v[142:143]
	v_add_f64 v[30:31], v[126:127], v[74:75]
	v_add_f64 v[76:77], v[0:1], -v[142:143]
	v_add_f64 v[0:1], v[122:123], -v[144:145]
	v_lshl_add_u32 v230, v8, 4, 0
	s_movk_i32 s2, 0xcd
	v_add_f64 v[24:25], v[128:129], v[138:139]
	v_add_f64 v[20:21], v[132:133], v[140:141]
	;; [unrolled: 1-line block ×4, first 2 shown]
	v_add_f64 v[72:73], v[124:125], -v[68:69]
	v_add_f64 v[68:69], v[128:129], -v[138:139]
	;; [unrolled: 1-line block ×5, first 2 shown]
	ds_write_b128 v229, v[92:95]
	ds_write_b128 v229, v[88:91] offset:16
	ds_write_b128 v229, v[84:87] offset:32
	;; [unrolled: 1-line block ×9, first 2 shown]
	ds_write_b128 v230, v[28:31]
	ds_write_b128 v230, v[24:27] offset:16
	ds_write_b128 v230, v[20:23] offset:32
	;; [unrolled: 1-line block ×9, first 2 shown]
	v_mul_lo_u16_sdwa v0, v184, s2 dst_sel:DWORD dst_unused:UNUSED_PAD src0_sel:BYTE_0 src1_sel:DWORD
	v_lshrrev_b16_e32 v237, 11, v0
	v_mul_lo_u16_e32 v0, 10, v237
	v_sub_u16_e32 v238, v184, v0
	v_mov_b32_e32 v236, 5
	v_mul_u32_u24_sdwa v0, v238, v236 dst_sel:DWORD dst_unused:UNUSED_PAD src0_sel:BYTE_0 src1_sel:DWORD
	v_lshlrev_b32_e32 v4, 4, v0
	s_waitcnt lgkmcnt(0)
	s_barrier
	global_load_dwordx4 v[144:147], v4, s[4:5]
	global_load_dwordx4 v[48:51], v4, s[4:5] offset:16
	v_mul_lo_u16_sdwa v5, v214, s2 dst_sel:DWORD dst_unused:UNUSED_PAD src0_sel:BYTE_0 src1_sel:DWORD
	v_lshrrev_b16_e32 v239, 11, v5
	s_movk_i32 s3, 0xff70
	v_mul_lo_u16_e32 v5, 10, v239
	v_accvgpr_write_b32 a16, v151           ;  Reload Reuse
	v_lshl_add_u32 v231, v224, 4, 0
	v_mad_i32_i24 v235, v214, s3, v229
	v_sub_u16_e32 v240, v214, v5
	v_accvgpr_write_b32 a17, v150           ;  Reload Reuse
	v_lshl_add_u32 v228, v150, 4, 0
	ds_read_b128 v[148:151], v231
	ds_read_b128 v[60:63], v228
	global_load_dwordx4 v[44:47], v4, s[4:5] offset:48
	global_load_dwordx4 v[64:67], v4, s[4:5] offset:32
	ds_read_b128 v[16:19], v226
	ds_read_b128 v[24:27], v226 offset:9216
	ds_read_b128 v[52:55], v226 offset:30720
	;; [unrolled: 1-line block ×3, first 2 shown]
	v_mad_i32_i24 v234, v212, s3, v230
	ds_read_b128 v[8:11], v235
	ds_read_b128 v[0:3], v234
	global_load_dwordx4 v[56:59], v4, s[4:5] offset:64
	v_mul_u32_u24_sdwa v4, v240, v236 dst_sel:DWORD dst_unused:UNUSED_PAD src0_sel:BYTE_0 src1_sel:DWORD
	v_lshlrev_b32_e32 v4, 4, v4
	s_mov_b32 s2, 0xcccd
	global_load_dwordx4 v[92:95], v4, s[4:5]
	ds_read_b128 v[80:83], v226 offset:24576
	ds_read_b128 v[40:43], v226 offset:26112
	;; [unrolled: 1-line block ×4, first 2 shown]
	global_load_dwordx4 v[84:87], v4, s[4:5] offset:32
	global_load_dwordx4 v[96:99], v4, s[4:5] offset:16
	ds_read_b128 v[76:79], v226 offset:10752
	ds_read_b128 v[36:39], v226 offset:12288
	;; [unrolled: 1-line block ×4, first 2 shown]
	global_load_dwordx4 v[88:91], v4, s[4:5] offset:48
	global_load_dwordx4 v[100:103], v4, s[4:5] offset:64
	v_mul_u32_u24_sdwa v4, v212, s2 dst_sel:DWORD dst_unused:UNUSED_PAD src0_sel:WORD_0 src1_sel:DWORD
	v_lshrrev_b32_e32 v241, 19, v4
	v_mul_lo_u16_e32 v4, 10, v241
	v_sub_u16_e32 v242, v212, v4
	v_mul_u32_u24_e32 v4, 5, v242
	v_mul_u32_u24_sdwa v157, v210, s2 dst_sel:DWORD dst_unused:UNUSED_PAD src0_sel:WORD_0 src1_sel:DWORD
	v_lshlrev_b32_e32 v156, 4, v4
	v_lshrrev_b32_e32 v243, 19, v157
	global_load_dwordx4 v[120:123], v156, s[4:5] offset:16
	global_load_dwordx4 v[136:139], v156, s[4:5]
	v_mul_lo_u16_e32 v157, 10, v243
	v_lshl_add_u32 v232, v210, 4, 0
	v_sub_u16_e32 v244, v210, v157
	ds_read_b128 v[128:131], v226 offset:33792
	ds_read_b128 v[116:119], v226 offset:35328
	v_lshl_add_u32 v233, v202, 4, 0
	ds_read_b128 v[12:15], v232
	ds_read_b128 v[4:7], v233
	ds_read_b128 v[152:155], v226 offset:16896
	ds_read_b128 v[108:111], v226 offset:13824
	global_load_dwordx4 v[132:135], v156, s[4:5] offset:48
	global_load_dwordx4 v[140:143], v156, s[4:5] offset:32
	ds_read_b128 v[176:179], v226 offset:23040
	ds_read_b128 v[112:115], v226 offset:21504
	;; [unrolled: 1-line block ×4, first 2 shown]
	global_load_dwordx4 v[160:163], v156, s[4:5] offset:64
	v_mul_u32_u24_e32 v156, 5, v244
	v_accvgpr_write_b32 a0, v158
	v_lshlrev_b32_e32 v188, 4, v156
	v_accvgpr_write_b32 a1, v159
	global_load_dwordx4 v[172:175], v188, s[4:5]
	ds_read_b128 v[180:183], v226 offset:38400
	ds_read_b128 v[156:159], v226 offset:36864
	global_load_dwordx4 v[164:167], v188, s[4:5] offset:32
	global_load_dwordx4 v[168:171], v188, s[4:5] offset:16
	;; [unrolled: 1-line block ×3, first 2 shown]
	v_accvgpr_write_b32 a4, v192
	v_accvgpr_write_b32 a2, v190
	;; [unrolled: 1-line block ×12, first 2 shown]
	s_mov_b32 s6, 0xe8584caa
	s_mov_b32 s7, 0xbfebb67a
	;; [unrolled: 1-line block ×3, first 2 shown]
	v_cmp_gt_u32_e32 vcc, 60, v184
	s_movk_i32 s8, 0x89
	s_waitcnt vmcnt(18) lgkmcnt(14)
	v_mul_f64 v[216:217], v[150:151], v[146:147]
	v_mul_f64 v[146:147], v[148:149], v[146:147]
	v_fmac_f64_e32 v[216:217], v[148:149], v[144:145]
	v_fma_f64 v[148:149], v[150:151], v[144:145], -v[146:147]
	global_load_dwordx4 v[144:147], v188, s[4:5] offset:48
	v_mul_u32_u24_sdwa v188, v202, s2 dst_sel:DWORD dst_unused:UNUSED_PAD src0_sel:WORD_0 src1_sel:DWORD
	v_lshrrev_b32_e32 v245, 19, v188
	v_mul_lo_u16_e32 v188, 10, v245
	v_sub_u16_e32 v246, v202, v188
	v_mul_u32_u24_e32 v188, 5, v246
	v_lshlrev_b32_e32 v188, 4, v188
	global_load_dwordx4 v[252:255], v188, s[4:5] offset:16
	global_load_dwordx4 v[206:209], v188, s[4:5]
	global_load_dwordx4 v[190:193], v188, s[4:5] offset:48
	global_load_dwordx4 v[198:201], v188, s[4:5] offset:32
	;; [unrolled: 1-line block ×3, first 2 shown]
	s_waitcnt vmcnt(23)
	v_mul_f64 v[150:151], v[62:63], v[50:51]
	v_mul_f64 v[50:51], v[60:61], v[50:51]
	v_fmac_f64_e32 v[150:151], v[60:61], v[48:49]
	v_fma_f64 v[220:221], v[62:63], v[48:49], -v[50:51]
	s_waitcnt vmcnt(21) lgkmcnt(5)
	v_mul_f64 v[218:219], v[178:179], v[66:67]
	v_mul_f64 v[48:49], v[176:177], v[66:67]
	;; [unrolled: 1-line block ×4, first 2 shown]
	v_fmac_f64_e32 v[218:219], v[176:177], v[64:65]
	v_fma_f64 v[176:177], v[178:179], v[64:65], -v[48:49]
	v_fmac_f64_e32 v[222:223], v[52:53], v[44:45]
	v_fma_f64 v[224:225], v[54:55], v[44:45], -v[46:47]
	s_waitcnt vmcnt(20) lgkmcnt(1)
	v_mul_f64 v[178:179], v[182:183], v[58:59]
	v_mul_f64 v[44:45], v[180:181], v[58:59]
	v_fmac_f64_e32 v[178:179], v[180:181], v[56:57]
	v_fma_f64 v[188:189], v[182:183], v[56:57], -v[44:45]
	s_waitcnt vmcnt(17)
	v_mul_f64 v[56:57], v[154:155], v[98:99]
	v_fmac_f64_e32 v[56:57], v[152:153], v[96:97]
	v_mul_f64 v[44:45], v[152:153], v[98:99]
	s_waitcnt vmcnt(16)
	v_mul_f64 v[152:153], v[22:23], v[90:91]
	v_fmac_f64_e32 v[152:153], v[20:21], v[88:89]
	v_mul_f64 v[20:21], v[20:21], v[90:91]
	v_fma_f64 v[58:59], v[154:155], v[96:97], -v[44:45]
	v_fma_f64 v[154:155], v[22:23], v[88:89], -v[20:21]
	s_waitcnt vmcnt(15)
	v_mul_f64 v[48:49], v[74:75], v[102:103]
	v_mul_f64 v[20:21], v[72:73], v[102:103]
	v_fmac_f64_e32 v[48:49], v[72:73], v[100:101]
	v_fma_f64 v[54:55], v[74:75], v[100:101], -v[20:21]
	s_waitcnt vmcnt(13)
	v_mul_f64 v[72:73], v[78:79], v[138:139]
	v_mul_f64 v[20:21], v[76:77], v[138:139]
	v_fmac_f64_e32 v[72:73], v[76:77], v[136:137]
	v_fma_f64 v[74:75], v[78:79], v[136:137], -v[20:21]
	v_mul_f64 v[76:77], v[70:71], v[122:123]
	v_mul_f64 v[20:21], v[68:69], v[122:123]
	v_fmac_f64_e32 v[76:77], v[68:69], v[120:121]
	v_fma_f64 v[68:69], v[70:71], v[120:121], -v[20:21]
	s_waitcnt vmcnt(11)
	v_mul_f64 v[20:21], v[40:41], v[142:143]
	v_mul_f64 v[50:51], v[26:27], v[94:95]
	v_fma_f64 v[62:63], v[42:43], v[140:141], -v[20:21]
	v_mul_f64 v[20:21], v[128:129], v[134:135]
	v_fmac_f64_e32 v[50:51], v[24:25], v[92:93]
	v_mul_f64 v[24:25], v[24:25], v[94:95]
	v_fma_f64 v[78:79], v[130:131], v[132:133], -v[20:21]
	s_waitcnt vmcnt(10)
	v_mul_f64 v[20:21], v[32:33], v[162:163]
	v_fma_f64 v[52:53], v[26:27], v[92:93], -v[24:25]
	ds_read_b128 v[24:27], v226 offset:43008
	ds_read_b128 v[180:183], v226 offset:44544
	v_fma_f64 v[66:67], v[34:35], v[160:161], -v[20:21]
	s_waitcnt vmcnt(9)
	v_mul_f64 v[20:21], v[36:37], v[174:175]
	v_fma_f64 v[92:93], v[38:39], v[172:173], -v[20:21]
	s_waitcnt vmcnt(7)
	v_mul_f64 v[20:21], v[28:29], v[170:171]
	v_mul_f64 v[46:47], v[80:81], v[86:87]
	v_fma_f64 v[94:95], v[30:31], v[168:169], -v[20:21]
	v_mul_f64 v[20:21], v[124:125], v[166:167]
	v_mul_f64 v[44:45], v[82:83], v[86:87]
	v_fma_f64 v[46:47], v[82:83], v[84:85], -v[46:47]
	v_fma_f64 v[82:83], v[126:127], v[164:165], -v[20:21]
	v_mul_f64 v[64:65], v[34:35], v[162:163]
	v_fmac_f64_e32 v[64:65], v[32:33], v[160:161]
	s_mov_b32 s2, s6
	v_mul_f64 v[90:91], v[38:39], v[174:175]
	v_mul_f64 v[60:61], v[42:43], v[142:143]
	v_fmac_f64_e32 v[60:61], v[40:41], v[140:141]
	v_fmac_f64_e32 v[90:91], v[36:37], v[172:173]
	;; [unrolled: 1-line block ×3, first 2 shown]
	v_mul_f64 v[88:89], v[30:31], v[170:171]
	v_mul_f64 v[80:81], v[126:127], v[166:167]
	v_fmac_f64_e32 v[80:81], v[124:125], v[164:165]
	s_waitcnt vmcnt(6) lgkmcnt(1)
	v_mul_f64 v[84:85], v[26:27], v[250:251]
	v_fmac_f64_e32 v[84:85], v[24:25], v[248:249]
	v_fmac_f64_e32 v[88:89], v[28:29], v[168:169]
	s_waitcnt vmcnt(5)
	v_mul_f64 v[20:21], v[116:117], v[146:147]
	v_mul_f64 v[96:97], v[118:119], v[146:147]
	v_fma_f64 v[98:99], v[118:119], v[144:145], -v[20:21]
	v_mul_f64 v[20:21], v[24:25], v[250:251]
	v_fmac_f64_e32 v[96:97], v[116:117], v[144:145]
	v_fma_f64 v[86:87], v[26:27], v[248:249], -v[20:21]
	v_mul_f64 v[70:71], v[130:131], v[134:135]
	s_waitcnt vmcnt(3)
	v_mul_f64 v[116:117], v[110:111], v[208:209]
	v_mul_f64 v[20:21], v[108:109], v[208:209]
	v_fmac_f64_e32 v[116:117], v[108:109], v[206:207]
	v_fma_f64 v[110:111], v[110:111], v[206:207], -v[20:21]
	v_mul_f64 v[108:109], v[114:115], v[254:255]
	v_mul_f64 v[20:21], v[112:113], v[254:255]
	v_fmac_f64_e32 v[108:109], v[112:113], v[252:253]
	v_fma_f64 v[112:113], v[114:115], v[252:253], -v[20:21]
	s_waitcnt vmcnt(1)
	v_mul_f64 v[20:21], v[104:105], v[200:201]
	v_fma_f64 v[102:103], v[106:107], v[198:199], -v[20:21]
	v_mul_f64 v[20:21], v[156:157], v[192:193]
	v_mul_f64 v[100:101], v[106:107], v[200:201]
	v_fma_f64 v[106:107], v[158:159], v[190:191], -v[20:21]
	s_waitcnt vmcnt(0) lgkmcnt(0)
	v_mul_f64 v[20:21], v[180:181], v[196:197]
	v_fma_f64 v[118:119], v[182:183], v[194:195], -v[20:21]
	v_add_f64 v[20:21], v[16:17], v[150:151]
	v_add_f64 v[32:33], v[20:21], v[222:223]
	v_add_f64 v[20:21], v[150:151], v[222:223]
	v_fmac_f64_e32 v[16:17], -0.5, v[20:21]
	v_add_f64 v[20:21], v[220:221], -v[224:225]
	v_fma_f64 v[34:35], s[6:7], v[20:21], v[16:17]
	v_fmac_f64_e32 v[16:17], s[2:3], v[20:21]
	v_add_f64 v[20:21], v[18:19], v[220:221]
	v_add_f64 v[38:39], v[20:21], v[224:225]
	v_add_f64 v[20:21], v[220:221], v[224:225]
	v_fmac_f64_e32 v[18:19], -0.5, v[20:21]
	v_add_f64 v[20:21], v[150:151], -v[222:223]
	v_fma_f64 v[40:41], s[2:3], v[20:21], v[18:19]
	v_fmac_f64_e32 v[18:19], s[6:7], v[20:21]
	;; [unrolled: 7-line block ×3, first 2 shown]
	v_add_f64 v[20:21], v[148:149], v[176:177]
	v_add_f64 v[42:43], v[20:21], v[188:189]
	;; [unrolled: 1-line block ×3, first 2 shown]
	v_fmac_f64_e32 v[148:149], -0.5, v[20:21]
	v_add_f64 v[20:21], v[218:219], -v[178:179]
	v_fma_f64 v[30:31], s[2:3], v[20:21], v[148:149]
	v_mul_f64 v[120:121], v[30:31], s[6:7]
	v_mul_f64 v[124:125], v[30:31], 0.5
	v_fmac_f64_e32 v[120:121], 0.5, v[22:23]
	v_fmac_f64_e32 v[124:125], s[2:3], v[22:23]
	v_fmac_f64_e32 v[148:149], s[6:7], v[20:21]
	v_add_f64 v[24:25], v[32:33], v[36:37]
	v_add_f64 v[20:21], v[34:35], v[120:121]
	;; [unrolled: 1-line block ×3, first 2 shown]
	v_add_f64 v[36:37], v[32:33], -v[36:37]
	v_add_f64 v[32:33], v[34:35], -v[120:121]
	;; [unrolled: 1-line block ×3, first 2 shown]
	v_add_f64 v[40:41], v[8:9], v[56:57]
	v_mul_f64 v[122:123], v[148:149], s[6:7]
	v_add_f64 v[120:121], v[40:41], v[152:153]
	v_add_f64 v[40:41], v[56:57], v[152:153]
	v_fmac_f64_e32 v[122:123], -0.5, v[216:217]
	v_fmac_f64_e32 v[8:9], -0.5, v[40:41]
	v_add_f64 v[40:41], v[58:59], -v[154:155]
	v_add_f64 v[28:29], v[16:17], v[122:123]
	v_add_f64 v[16:17], v[16:17], -v[122:123]
	v_fma_f64 v[122:123], s[6:7], v[40:41], v[8:9]
	v_fmac_f64_e32 v[8:9], s[2:3], v[40:41]
	v_add_f64 v[40:41], v[10:11], v[58:59]
	v_mul_f64 v[126:127], v[148:149], -0.5
	v_add_f64 v[124:125], v[40:41], v[154:155]
	v_add_f64 v[40:41], v[58:59], v[154:155]
	v_fmac_f64_e32 v[126:127], s[2:3], v[216:217]
	v_fmac_f64_e32 v[10:11], -0.5, v[40:41]
	v_add_f64 v[40:41], v[56:57], -v[152:153]
	v_add_f64 v[30:31], v[18:19], v[126:127]
	v_add_f64 v[18:19], v[18:19], -v[126:127]
	v_fma_f64 v[126:127], s[2:3], v[40:41], v[10:11]
	v_fmac_f64_e32 v[10:11], s[6:7], v[40:41]
	v_add_f64 v[40:41], v[50:51], v[44:45]
	v_add_f64 v[56:57], v[40:41], v[48:49]
	;; [unrolled: 1-line block ×3, first 2 shown]
	v_fmac_f64_e32 v[50:51], -0.5, v[40:41]
	v_add_f64 v[40:41], v[46:47], -v[54:55]
	v_add_f64 v[26:27], v[38:39], v[42:43]
	v_add_f64 v[38:39], v[38:39], -v[42:43]
	v_fma_f64 v[42:43], s[6:7], v[40:41], v[50:51]
	v_fmac_f64_e32 v[50:51], s[2:3], v[40:41]
	v_add_f64 v[40:41], v[52:53], v[46:47]
	v_add_f64 v[58:59], v[40:41], v[54:55]
	;; [unrolled: 1-line block ×3, first 2 shown]
	v_fmac_f64_e32 v[52:53], -0.5, v[40:41]
	v_add_f64 v[40:41], v[44:45], -v[48:49]
	v_fma_f64 v[54:55], s[2:3], v[40:41], v[52:53]
	v_fmac_f64_e32 v[70:71], v[128:129], v[132:133]
	v_mul_f64 v[128:129], v[54:55], s[6:7]
	v_fmac_f64_e32 v[52:53], s[6:7], v[40:41]
	v_fmac_f64_e32 v[128:129], 0.5, v[42:43]
	v_add_f64 v[40:41], v[122:123], v[128:129]
	v_mul_f64 v[130:131], v[52:53], s[6:7]
	v_mul_f64 v[132:133], v[52:53], -0.5
	v_add_f64 v[52:53], v[122:123], -v[128:129]
	v_add_f64 v[122:123], v[76:77], v[70:71]
	v_add_f64 v[44:45], v[120:121], v[56:57]
	v_add_f64 v[56:57], v[120:121], -v[56:57]
	v_add_f64 v[120:121], v[0:1], v[76:77]
	v_fmac_f64_e32 v[0:1], -0.5, v[122:123]
	v_add_f64 v[122:123], v[68:69], -v[78:79]
	v_add_f64 v[46:47], v[124:125], v[58:59]
	v_mul_f64 v[54:55], v[54:55], 0.5
	v_add_f64 v[58:59], v[124:125], -v[58:59]
	v_fma_f64 v[124:125], s[6:7], v[122:123], v[0:1]
	v_fmac_f64_e32 v[0:1], s[2:3], v[122:123]
	v_add_f64 v[122:123], v[2:3], v[68:69]
	v_add_f64 v[68:69], v[68:69], v[78:79]
	v_fmac_f64_e32 v[54:55], s[2:3], v[42:43]
	v_fmac_f64_e32 v[2:3], -0.5, v[68:69]
	v_add_f64 v[68:69], v[76:77], -v[70:71]
	v_add_f64 v[42:43], v[126:127], v[54:55]
	v_add_f64 v[54:55], v[126:127], -v[54:55]
	v_fma_f64 v[126:127], s[2:3], v[68:69], v[2:3]
	v_fmac_f64_e32 v[2:3], s[6:7], v[68:69]
	v_add_f64 v[68:69], v[72:73], v[60:61]
	v_add_f64 v[76:77], v[68:69], v[64:65]
	;; [unrolled: 1-line block ×3, first 2 shown]
	v_fmac_f64_e32 v[72:73], -0.5, v[68:69]
	v_add_f64 v[68:69], v[62:63], -v[66:67]
	v_add_f64 v[120:121], v[120:121], v[70:71]
	v_fma_f64 v[70:71], s[6:7], v[68:69], v[72:73]
	v_fmac_f64_e32 v[72:73], s[2:3], v[68:69]
	v_add_f64 v[68:69], v[74:75], v[62:63]
	v_add_f64 v[62:63], v[62:63], v[66:67]
	v_fmac_f64_e32 v[74:75], -0.5, v[62:63]
	v_add_f64 v[60:61], v[60:61], -v[64:65]
	v_add_f64 v[122:123], v[122:123], v[78:79]
	v_add_f64 v[78:79], v[68:69], v[66:67]
	v_fma_f64 v[62:63], s[2:3], v[60:61], v[74:75]
	v_fmac_f64_e32 v[130:131], -0.5, v[50:51]
	v_fmac_f64_e32 v[74:75], s[6:7], v[60:61]
	v_mul_f64 v[128:129], v[62:63], s[6:7]
	v_add_f64 v[66:67], v[122:123], v[78:79]
	v_add_f64 v[78:79], v[122:123], -v[78:79]
	v_add_f64 v[122:123], v[88:89], v[96:97]
	v_add_f64 v[48:49], v[8:9], v[130:131]
	v_add_f64 v[8:9], v[8:9], -v[130:131]
	v_add_f64 v[64:65], v[120:121], v[76:77]
	v_fmac_f64_e32 v[128:129], 0.5, v[70:71]
	v_mul_f64 v[130:131], v[74:75], s[6:7]
	v_mul_f64 v[134:135], v[74:75], -0.5
	v_add_f64 v[76:77], v[120:121], -v[76:77]
	v_add_f64 v[120:121], v[12:13], v[88:89]
	v_fmac_f64_e32 v[12:13], -0.5, v[122:123]
	v_add_f64 v[122:123], v[94:95], -v[98:99]
	v_add_f64 v[60:61], v[124:125], v[128:129]
	v_fmac_f64_e32 v[130:131], -0.5, v[72:73]
	v_fmac_f64_e32 v[134:135], s[2:3], v[72:73]
	v_add_f64 v[72:73], v[124:125], -v[128:129]
	v_fma_f64 v[124:125], s[6:7], v[122:123], v[12:13]
	v_fmac_f64_e32 v[12:13], s[2:3], v[122:123]
	v_add_f64 v[122:123], v[14:15], v[94:95]
	v_add_f64 v[94:95], v[94:95], v[98:99]
	v_fmac_f64_e32 v[14:15], -0.5, v[94:95]
	v_add_f64 v[88:89], v[88:89], -v[96:97]
	v_fma_f64 v[94:95], s[2:3], v[88:89], v[14:15]
	v_fmac_f64_e32 v[14:15], s[6:7], v[88:89]
	v_add_f64 v[88:89], v[90:91], v[80:81]
	v_add_f64 v[120:121], v[120:121], v[96:97]
	;; [unrolled: 1-line block ×4, first 2 shown]
	v_fmac_f64_e32 v[90:91], -0.5, v[88:89]
	v_add_f64 v[88:89], v[82:83], -v[86:87]
	v_fmac_f64_e32 v[132:133], s[2:3], v[50:51]
	v_add_f64 v[122:123], v[122:123], v[98:99]
	v_fma_f64 v[98:99], s[6:7], v[88:89], v[90:91]
	v_fmac_f64_e32 v[90:91], s[2:3], v[88:89]
	v_add_f64 v[88:89], v[92:93], v[82:83]
	v_add_f64 v[82:83], v[82:83], v[86:87]
	;; [unrolled: 1-line block ×3, first 2 shown]
	v_add_f64 v[10:11], v[10:11], -v[132:133]
	v_mul_f64 v[132:133], v[62:63], 0.5
	v_fmac_f64_e32 v[92:93], -0.5, v[82:83]
	v_add_f64 v[80:81], v[80:81], -v[84:85]
	v_fmac_f64_e32 v[100:101], v[104:105], v[198:199]
	v_mul_f64 v[104:105], v[158:159], v[192:193]
	v_fmac_f64_e32 v[132:133], s[2:3], v[70:71]
	v_fma_f64 v[82:83], s[2:3], v[80:81], v[92:93]
	v_fmac_f64_e32 v[104:105], v[156:157], v[190:191]
	v_add_f64 v[62:63], v[126:127], v[132:133]
	v_add_f64 v[74:75], v[126:127], -v[132:133]
	v_add_f64 v[126:127], v[88:89], v[86:87]
	v_mul_f64 v[128:129], v[82:83], s[6:7]
	v_mul_f64 v[132:133], v[82:83], 0.5
	v_fmac_f64_e32 v[128:129], 0.5, v[98:99]
	v_add_f64 v[86:87], v[122:123], v[126:127]
	v_fmac_f64_e32 v[132:133], s[2:3], v[98:99]
	v_add_f64 v[98:99], v[122:123], -v[126:127]
	v_add_f64 v[122:123], v[108:109], v[104:105]
	v_fmac_f64_e32 v[92:93], s[6:7], v[80:81]
	v_add_f64 v[84:85], v[120:121], v[96:97]
	v_add_f64 v[96:97], v[120:121], -v[96:97]
	v_add_f64 v[120:121], v[4:5], v[108:109]
	v_fmac_f64_e32 v[4:5], -0.5, v[122:123]
	v_add_f64 v[122:123], v[112:113], -v[106:107]
	v_add_f64 v[68:69], v[0:1], v[130:131]
	v_add_f64 v[70:71], v[2:3], v[134:135]
	v_add_f64 v[0:1], v[0:1], -v[130:131]
	v_add_f64 v[2:3], v[2:3], -v[134:135]
	v_add_f64 v[80:81], v[124:125], v[128:129]
	v_mul_f64 v[130:131], v[92:93], s[6:7]
	v_mul_f64 v[134:135], v[92:93], -0.5
	v_add_f64 v[92:93], v[124:125], -v[128:129]
	v_fma_f64 v[124:125], s[6:7], v[122:123], v[4:5]
	v_fmac_f64_e32 v[4:5], s[2:3], v[122:123]
	v_add_f64 v[122:123], v[6:7], v[112:113]
	v_add_f64 v[122:123], v[122:123], v[106:107]
	;; [unrolled: 1-line block ×3, first 2 shown]
	v_mul_f64 v[114:115], v[182:183], v[196:197]
	v_add_f64 v[120:121], v[120:121], v[104:105]
	v_fmac_f64_e32 v[6:7], -0.5, v[106:107]
	v_add_f64 v[104:105], v[108:109], -v[104:105]
	v_fmac_f64_e32 v[114:115], v[180:181], v[194:195]
	v_fma_f64 v[126:127], s[2:3], v[104:105], v[6:7]
	v_fmac_f64_e32 v[6:7], s[6:7], v[104:105]
	v_add_f64 v[104:105], v[116:117], v[100:101]
	v_add_f64 v[112:113], v[104:105], v[114:115]
	;; [unrolled: 1-line block ×3, first 2 shown]
	v_fmac_f64_e32 v[116:117], -0.5, v[104:105]
	v_add_f64 v[104:105], v[102:103], -v[118:119]
	v_fma_f64 v[128:129], s[6:7], v[104:105], v[116:117]
	v_fmac_f64_e32 v[116:117], s[2:3], v[104:105]
	v_add_f64 v[104:105], v[110:111], v[102:103]
	v_add_f64 v[102:103], v[102:103], v[118:119]
	v_fmac_f64_e32 v[110:111], -0.5, v[102:103]
	v_add_f64 v[100:101], v[100:101], -v[114:115]
	v_fma_f64 v[102:103], s[2:3], v[100:101], v[110:111]
	v_fmac_f64_e32 v[130:131], -0.5, v[90:91]
	v_add_f64 v[82:83], v[94:95], v[132:133]
	v_add_f64 v[94:95], v[94:95], -v[132:133]
	v_fmac_f64_e32 v[110:111], s[6:7], v[100:101]
	v_mul_f64 v[114:115], v[102:103], s[6:7]
	v_mul_f64 v[132:133], v[102:103], 0.5
	v_add_f64 v[88:89], v[12:13], v[130:131]
	v_add_f64 v[12:13], v[12:13], -v[130:131]
	v_add_f64 v[130:131], v[104:105], v[118:119]
	v_fmac_f64_e32 v[114:115], 0.5, v[128:129]
	v_mul_f64 v[118:119], v[110:111], s[6:7]
	v_fmac_f64_e32 v[132:133], s[2:3], v[128:129]
	v_mul_f64 v[128:129], v[110:111], -0.5
	v_mov_b32_e32 v180, 4
	v_add_f64 v[104:105], v[120:121], v[112:113]
	v_fmac_f64_e32 v[118:119], -0.5, v[116:117]
	v_fmac_f64_e32 v[128:129], s[2:3], v[116:117]
	v_add_f64 v[116:117], v[120:121], -v[112:113]
	v_mul_u32_u24_e32 v120, 0x3c0, v237
	v_lshlrev_b32_sdwa v121, v180, v238 dst_sel:DWORD dst_unused:UNUSED_PAD src0_sel:DWORD src1_sel:BYTE_0
	v_add3_u32 v120, 0, v120, v121
	s_barrier
	ds_write_b128 v120, v[24:27]
	ds_write_b128 v120, v[20:23] offset:160
	ds_write_b128 v120, v[28:31] offset:320
	;; [unrolled: 1-line block ×5, first 2 shown]
	v_mul_u32_u24_e32 v16, 0x3c0, v239
	v_lshlrev_b32_sdwa v17, v180, v240 dst_sel:DWORD dst_unused:UNUSED_PAD src0_sel:DWORD src1_sel:BYTE_0
	v_add3_u32 v16, 0, v16, v17
	ds_write_b128 v16, v[44:47]
	ds_write_b128 v16, v[40:43] offset:160
	ds_write_b128 v16, v[48:51] offset:320
	;; [unrolled: 1-line block ×5, first 2 shown]
	v_mul_u32_u24_e32 v8, 0x3c0, v241
	v_lshlrev_b32_e32 v9, 4, v242
	v_add3_u32 v8, 0, v8, v9
	ds_write_b128 v8, v[64:67]
	ds_write_b128 v8, v[60:63] offset:160
	ds_write_b128 v8, v[68:71] offset:320
	;; [unrolled: 1-line block ×5, first 2 shown]
	v_mul_u32_u24_e32 v0, 0x3c0, v243
	v_lshlrev_b32_e32 v1, 4, v244
	v_fmac_f64_e32 v[134:135], s[2:3], v[90:91]
	v_add3_u32 v0, 0, v0, v1
	v_add_f64 v[90:91], v[14:15], v[134:135]
	v_add_f64 v[14:15], v[14:15], -v[134:135]
	ds_write_b128 v0, v[84:87]
	ds_write_b128 v0, v[80:83] offset:160
	ds_write_b128 v0, v[88:91] offset:320
	;; [unrolled: 1-line block ×5, first 2 shown]
	v_mul_u32_u24_e32 v0, 0x3c0, v245
	v_lshlrev_b32_e32 v1, 4, v246
	v_add_f64 v[106:107], v[122:123], v[130:131]
	v_add3_u32 v0, 0, v0, v1
	v_add_f64 v[100:101], v[124:125], v[114:115]
	v_add_f64 v[108:109], v[4:5], v[118:119]
	;; [unrolled: 1-line block ×4, first 2 shown]
	v_add_f64 v[112:113], v[124:125], -v[114:115]
	v_add_f64 v[4:5], v[4:5], -v[118:119]
	;; [unrolled: 1-line block ×5, first 2 shown]
	ds_write_b128 v0, v[104:107]
	ds_write_b128 v0, v[100:103] offset:160
	ds_write_b128 v0, v[108:111] offset:320
	;; [unrolled: 1-line block ×5, first 2 shown]
	v_subrev_u32_e32 v0, 60, v184
	v_cndmask_b32_e32 v181, v0, v184, vcc
	v_mul_i32_i24_e32 v176, 5, v181
	v_mov_b32_e32 v177, 0
	v_lshl_add_u64 v[0:1], v[176:177], 4, s[4:5]
	s_waitcnt lgkmcnt(0)
	s_barrier
	global_load_dwordx4 v[144:147], v[0:1], off offset:800
	global_load_dwordx4 v[140:143], v[0:1], off offset:816
	;; [unrolled: 1-line block ×4, first 2 shown]
	ds_read_b128 v[152:155], v231
	ds_read_b128 v[148:151], v228
	;; [unrolled: 1-line block ×3, first 2 shown]
	ds_read_b128 v[24:27], v226 offset:9216
	ds_read_b128 v[60:63], v226 offset:30720
	;; [unrolled: 1-line block ×3, first 2 shown]
	global_load_dwordx4 v[44:47], v[0:1], off offset:864
	v_mul_lo_u16_sdwa v2, v214, s8 dst_sel:DWORD dst_unused:UNUSED_PAD src0_sel:BYTE_0 src1_sel:DWORD
	v_lshrrev_b16_e32 v182, 13, v2
	v_mul_lo_u16_e32 v2, 60, v182
	v_sub_u16_e32 v176, v214, v2
	v_mul_u32_u24_sdwa v0, v176, v236 dst_sel:DWORD dst_unused:UNUSED_PAD src0_sel:BYTE_0 src1_sel:DWORD
	v_lshlrev_b32_e32 v0, 4, v0
	s_mov_b32 s8, 0x8889
	global_load_dwordx4 v[88:91], v0, s[4:5] offset:800
	ds_read_b128 v[16:19], v235
	ds_read_b128 v[4:7], v234
	ds_read_b128 v[72:75], v226 offset:24576
	ds_read_b128 v[40:43], v226 offset:26112
	global_load_dwordx4 v[76:79], v0, s[4:5] offset:832
	global_load_dwordx4 v[84:87], v0, s[4:5] offset:816
	ds_read_b128 v[64:67], v226 offset:39936
	ds_read_b128 v[36:39], v226 offset:41472
	;; [unrolled: 1-line block ×6, first 2 shown]
	global_load_dwordx4 v[80:83], v0, s[4:5] offset:848
	global_load_dwordx4 v[92:95], v0, s[4:5] offset:864
	v_mul_u32_u24_sdwa v0, v212, s8 dst_sel:DWORD dst_unused:UNUSED_PAD src0_sel:WORD_0 src1_sel:DWORD
	v_lshrrev_b32_e32 v183, 21, v0
	v_mul_lo_u16_e32 v0, 60, v183
	v_sub_u16_e32 v216, v212, v0
	v_mul_u32_u24_e32 v0, 5, v216
	v_lshlrev_b32_e32 v156, 4, v0
	v_mul_u32_u24_sdwa v157, v210, s8 dst_sel:DWORD dst_unused:UNUSED_PAD src0_sel:WORD_0 src1_sel:DWORD
	global_load_dwordx4 v[112:115], v156, s[4:5] offset:816
	global_load_dwordx4 v[132:135], v156, s[4:5] offset:800
	v_lshrrev_b32_e32 v217, 21, v157
	v_mul_lo_u16_e32 v160, 60, v217
	ds_read_b128 v[120:123], v226 offset:33792
	ds_read_b128 v[108:111], v226 offset:35328
	ds_read_b128 v[8:11], v232
	ds_read_b128 v[0:3], v233
	ds_read_b128 v[136:139], v226 offset:16896
	ds_read_b128 v[100:103], v226 offset:13824
	global_load_dwordx4 v[124:127], v156, s[4:5] offset:848
	global_load_dwordx4 v[128:131], v156, s[4:5] offset:832
	v_sub_u16_e32 v218, v210, v160
	v_mul_u32_u24_e32 v160, 5, v218
	ds_read_b128 v[172:175], v226 offset:23040
	ds_read_b128 v[104:107], v226 offset:21504
	;; [unrolled: 1-line block ×4, first 2 shown]
	global_load_dwordx4 v[156:159], v156, s[4:5] offset:864
	v_lshlrev_b32_e32 v188, 4, v160
	global_load_dwordx4 v[168:171], v188, s[4:5] offset:800
	global_load_dwordx4 v[160:163], v188, s[4:5] offset:832
	;; [unrolled: 1-line block ×3, first 2 shown]
	v_cmp_lt_u32_e32 vcc, 59, v184
	s_waitcnt vmcnt(17) lgkmcnt(14)
	v_mul_f64 v[178:179], v[154:155], v[146:147]
	v_mul_f64 v[146:147], v[152:153], v[146:147]
	v_fmac_f64_e32 v[178:179], v[152:153], v[144:145]
	v_fma_f64 v[144:145], v[154:155], v[144:145], -v[146:147]
	s_waitcnt vmcnt(16)
	v_mul_f64 v[146:147], v[150:151], v[142:143]
	v_mul_f64 v[142:143], v[148:149], v[142:143]
	v_fmac_f64_e32 v[146:147], v[148:149], v[140:141]
	v_fma_f64 v[148:149], v[150:151], v[140:141], -v[142:143]
	v_mul_u32_u24_sdwa v150, v202, s8 dst_sel:DWORD dst_unused:UNUSED_PAD src0_sel:WORD_0 src1_sel:DWORD
	v_lshrrev_b32_e32 v152, 21, v150
	v_mul_lo_u16_e32 v150, 60, v152
	v_sub_u16_e32 v153, v202, v150
	v_mul_u32_u24_e32 v150, 5, v153
	v_lshlrev_b32_e32 v150, 4, v150
	s_waitcnt vmcnt(15) lgkmcnt(3)
	v_mul_f64 v[154:155], v[174:175], v[70:71]
	v_mul_f64 v[70:71], v[172:173], v[70:71]
	global_load_dwordx4 v[140:143], v188, s[4:5] offset:848
	global_load_dwordx4 v[190:193], v188, s[4:5] offset:864
	;; [unrolled: 1-line block ×4, first 2 shown]
	v_fmac_f64_e32 v[154:155], v[172:173], v[68:69]
	v_fma_f64 v[188:189], v[174:175], v[68:69], -v[70:71]
	global_load_dwordx4 v[172:175], v150, s[4:5] offset:848
	global_load_dwordx4 v[206:209], v150, s[4:5] offset:832
	ds_read_b128 v[68:71], v226 offset:38400
	ds_read_b128 v[220:223], v226 offset:36864
	s_waitcnt vmcnt(20)
	v_mul_f64 v[224:225], v[62:63], v[50:51]
	v_mul_f64 v[50:51], v[60:61], v[50:51]
	v_fmac_f64_e32 v[224:225], v[60:61], v[48:49]
	v_fma_f64 v[240:241], v[62:63], v[48:49], -v[50:51]
	s_waitcnt vmcnt(19) lgkmcnt(1)
	v_mul_f64 v[242:243], v[70:71], v[46:47]
	v_mul_f64 v[50:51], v[68:69], v[46:47]
	global_load_dwordx4 v[46:49], v150, s[4:5] offset:864
	s_waitcnt vmcnt(16)
	v_mul_f64 v[248:249], v[22:23], v[82:83]
	v_fmac_f64_e32 v[248:249], v[20:21], v[80:81]
	v_mul_f64 v[20:21], v[20:21], v[82:83]
	v_mul_f64 v[244:245], v[138:139], v[86:87]
	v_mul_f64 v[60:61], v[136:137], v[86:87]
	v_fma_f64 v[250:251], v[22:23], v[80:81], -v[20:21]
	s_waitcnt vmcnt(15)
	v_mul_f64 v[20:21], v[64:65], v[94:95]
	v_fmac_f64_e32 v[244:245], v[136:137], v[84:85]
	v_fma_f64 v[136:137], v[138:139], v[84:85], -v[60:61]
	v_mul_f64 v[138:139], v[74:75], v[78:79]
	v_fma_f64 v[254:255], v[66:67], v[92:93], -v[20:21]
	s_waitcnt vmcnt(13)
	v_mul_f64 v[20:21], v[56:57], v[134:135]
	v_fmac_f64_e32 v[138:139], v[72:73], v[76:77]
	v_mul_f64 v[60:61], v[72:73], v[78:79]
	v_fma_f64 v[72:73], v[58:59], v[132:133], -v[20:21]
	v_mul_f64 v[20:21], v[52:53], v[114:115]
	v_fma_f64 v[246:247], v[74:75], v[76:77], -v[60:61]
	v_fma_f64 v[74:75], v[54:55], v[112:113], -v[20:21]
	s_waitcnt vmcnt(11)
	v_mul_f64 v[20:21], v[40:41], v[130:131]
	v_fmac_f64_e32 v[242:243], v[68:69], v[44:45]
	v_fma_f64 v[44:45], v[70:71], v[44:45], -v[50:51]
	v_mul_f64 v[50:51], v[26:27], v[90:91]
	v_fma_f64 v[62:63], v[42:43], v[128:129], -v[20:21]
	v_mul_f64 v[20:21], v[120:121], v[126:127]
	v_fmac_f64_e32 v[50:51], v[24:25], v[88:89]
	v_mul_f64 v[24:25], v[24:25], v[90:91]
	v_fma_f64 v[78:79], v[122:123], v[124:125], -v[20:21]
	s_waitcnt vmcnt(10)
	v_mul_f64 v[20:21], v[36:37], v[158:159]
	v_fma_f64 v[150:151], v[26:27], v[88:89], -v[24:25]
	ds_read_b128 v[24:27], v226 offset:43008
	ds_read_b128 v[236:239], v226 offset:44544
	v_mul_f64 v[252:253], v[66:67], v[94:95]
	v_fma_f64 v[66:67], v[38:39], v[156:157], -v[20:21]
	s_waitcnt vmcnt(9)
	v_mul_f64 v[20:21], v[32:33], v[170:171]
	v_fmac_f64_e32 v[252:253], v[64:65], v[92:93]
	v_fma_f64 v[92:93], v[34:35], v[168:169], -v[20:21]
	s_waitcnt vmcnt(7)
	v_mul_f64 v[20:21], v[28:29], v[166:167]
	v_fma_f64 v[94:95], v[30:31], v[164:165], -v[20:21]
	v_mul_f64 v[20:21], v[116:117], v[162:163]
	v_fma_f64 v[82:83], v[118:119], v[160:161], -v[20:21]
	v_mul_f64 v[76:77], v[122:123], v[126:127]
	v_mul_f64 v[68:69], v[54:55], v[114:115]
	v_fmac_f64_e32 v[68:69], v[52:53], v[112:113]
	v_fmac_f64_e32 v[76:77], v[120:121], v[124:125]
	v_mul_f64 v[80:81], v[118:119], v[162:163]
	v_mul_f64 v[90:91], v[34:35], v[170:171]
	v_fmac_f64_e32 v[90:91], v[32:33], v[168:169]
	v_mul_f64 v[64:65], v[38:39], v[158:159]
	v_mul_f64 v[60:61], v[42:43], v[130:131]
	v_fmac_f64_e32 v[60:61], v[40:41], v[128:129]
	v_fmac_f64_e32 v[64:65], v[36:37], v[156:157]
	v_mul_f64 v[88:89], v[30:31], v[166:167]
	v_mul_f64 v[70:71], v[58:59], v[134:135]
	v_fmac_f64_e32 v[70:71], v[56:57], v[132:133]
	v_fmac_f64_e32 v[88:89], v[28:29], v[164:165]
	;; [unrolled: 1-line block ×3, first 2 shown]
	s_waitcnt lgkmcnt(0)
	s_barrier
	s_waitcnt vmcnt(6)
	v_mul_f64 v[20:21], v[108:109], v[142:143]
	v_fma_f64 v[122:123], v[110:111], v[140:141], -v[20:21]
	s_waitcnt vmcnt(5)
	v_mul_f64 v[20:21], v[24:25], v[192:193]
	v_fma_f64 v[86:87], v[26:27], v[190:191], -v[20:21]
	s_waitcnt vmcnt(3)
	v_mul_f64 v[20:21], v[100:101], v[200:201]
	v_mul_f64 v[120:121], v[110:111], v[142:143]
	v_fma_f64 v[112:113], v[102:103], v[198:199], -v[20:21]
	v_mul_f64 v[20:21], v[104:105], v[196:197]
	v_fmac_f64_e32 v[120:121], v[108:109], v[140:141]
	v_mul_f64 v[108:109], v[106:107], v[196:197]
	v_fma_f64 v[106:107], v[106:107], v[194:195], -v[20:21]
	s_waitcnt vmcnt(1)
	v_mul_f64 v[20:21], v[96:97], v[208:209]
	v_mul_f64 v[110:111], v[102:103], v[200:201]
	v_fma_f64 v[102:103], v[98:99], v[206:207], -v[20:21]
	v_mul_f64 v[20:21], v[220:221], v[174:175]
	v_fma_f64 v[118:119], v[222:223], v[172:173], -v[20:21]
	s_waitcnt vmcnt(0)
	v_mul_f64 v[20:21], v[236:237], v[48:49]
	v_fma_f64 v[114:115], v[238:239], v[46:47], -v[20:21]
	v_add_f64 v[20:21], v[12:13], v[146:147]
	v_add_f64 v[32:33], v[20:21], v[224:225]
	v_add_f64 v[20:21], v[146:147], v[224:225]
	v_fmac_f64_e32 v[12:13], -0.5, v[20:21]
	v_add_f64 v[20:21], v[148:149], -v[240:241]
	v_fma_f64 v[34:35], s[6:7], v[20:21], v[12:13]
	v_fmac_f64_e32 v[12:13], s[2:3], v[20:21]
	v_add_f64 v[20:21], v[14:15], v[148:149]
	v_add_f64 v[38:39], v[20:21], v[240:241]
	v_add_f64 v[20:21], v[148:149], v[240:241]
	v_fmac_f64_e32 v[14:15], -0.5, v[20:21]
	v_add_f64 v[20:21], v[146:147], -v[224:225]
	v_fma_f64 v[40:41], s[2:3], v[20:21], v[14:15]
	v_fmac_f64_e32 v[14:15], s[6:7], v[20:21]
	;; [unrolled: 7-line block ×4, first 2 shown]
	v_mul_f64 v[104:105], v[238:239], v[48:49]
	v_fmac_f64_e32 v[144:145], s[6:7], v[20:21]
	v_mul_f64 v[44:45], v[30:31], s[6:7]
	v_mul_f64 v[48:49], v[30:31], 0.5
	v_mul_f64 v[84:85], v[26:27], v[192:193]
	v_fmac_f64_e32 v[44:45], 0.5, v[22:23]
	v_fmac_f64_e32 v[48:49], s[2:3], v[22:23]
	v_mul_f64 v[52:53], v[144:145], -0.5
	v_fmac_f64_e32 v[84:85], v[24:25], v[190:191]
	v_add_f64 v[24:25], v[32:33], v[36:37]
	v_add_f64 v[20:21], v[34:35], v[44:45]
	;; [unrolled: 1-line block ×3, first 2 shown]
	v_fmac_f64_e32 v[52:53], s[2:3], v[178:179]
	v_add_f64 v[36:37], v[32:33], -v[36:37]
	v_add_f64 v[32:33], v[34:35], -v[44:45]
	;; [unrolled: 1-line block ×3, first 2 shown]
	v_add_f64 v[40:41], v[16:17], v[244:245]
	v_add_f64 v[30:31], v[14:15], v[52:53]
	v_add_f64 v[14:15], v[14:15], -v[52:53]
	v_add_f64 v[52:53], v[40:41], v[248:249]
	v_add_f64 v[40:41], v[244:245], v[248:249]
	v_fmac_f64_e32 v[16:17], -0.5, v[40:41]
	v_add_f64 v[40:41], v[136:137], -v[250:251]
	v_fma_f64 v[54:55], s[6:7], v[40:41], v[16:17]
	v_fmac_f64_e32 v[16:17], s[2:3], v[40:41]
	v_add_f64 v[40:41], v[18:19], v[136:137]
	v_add_f64 v[58:59], v[40:41], v[250:251]
	;; [unrolled: 1-line block ×3, first 2 shown]
	v_fmac_f64_e32 v[110:111], v[100:101], v[198:199]
	v_mul_f64 v[100:101], v[98:99], v[208:209]
	v_fmac_f64_e32 v[18:19], -0.5, v[40:41]
	v_add_f64 v[40:41], v[244:245], -v[248:249]
	v_fmac_f64_e32 v[100:101], v[96:97], v[206:207]
	v_fma_f64 v[96:97], s[2:3], v[40:41], v[18:19]
	v_fmac_f64_e32 v[18:19], s[6:7], v[40:41]
	v_add_f64 v[40:41], v[50:51], v[138:139]
	v_add_f64 v[56:57], v[40:41], v[252:253]
	;; [unrolled: 1-line block ×3, first 2 shown]
	v_fmac_f64_e32 v[50:51], -0.5, v[40:41]
	v_add_f64 v[40:41], v[246:247], -v[254:255]
	v_add_f64 v[26:27], v[38:39], v[42:43]
	v_add_f64 v[38:39], v[38:39], -v[42:43]
	v_fma_f64 v[42:43], s[6:7], v[40:41], v[50:51]
	v_fmac_f64_e32 v[50:51], s[2:3], v[40:41]
	v_add_f64 v[40:41], v[150:151], v[246:247]
	v_add_f64 v[98:99], v[40:41], v[254:255]
	;; [unrolled: 1-line block ×3, first 2 shown]
	v_fmac_f64_e32 v[150:151], -0.5, v[40:41]
	v_add_f64 v[40:41], v[138:139], -v[252:253]
	v_fmac_f64_e32 v[104:105], v[236:237], v[46:47]
	v_mul_f64 v[46:47], v[144:145], s[6:7]
	v_fma_f64 v[124:125], s[2:3], v[40:41], v[150:151]
	v_fmac_f64_e32 v[46:47], -0.5, v[178:179]
	v_mul_f64 v[126:127], v[124:125], s[6:7]
	v_mul_f64 v[124:125], v[124:125], 0.5
	v_add_f64 v[28:29], v[12:13], v[46:47]
	v_add_f64 v[12:13], v[12:13], -v[46:47]
	v_fmac_f64_e32 v[126:127], 0.5, v[42:43]
	v_add_f64 v[46:47], v[58:59], v[98:99]
	v_fmac_f64_e32 v[124:125], s[2:3], v[42:43]
	v_add_f64 v[58:59], v[58:59], -v[98:99]
	v_add_f64 v[98:99], v[68:69], v[76:77]
	v_fmac_f64_e32 v[150:151], s[6:7], v[40:41]
	v_add_f64 v[44:45], v[52:53], v[56:57]
	v_add_f64 v[40:41], v[54:55], v[126:127]
	;; [unrolled: 1-line block ×3, first 2 shown]
	v_add_f64 v[56:57], v[52:53], -v[56:57]
	v_add_f64 v[52:53], v[54:55], -v[126:127]
	;; [unrolled: 1-line block ×3, first 2 shown]
	v_add_f64 v[96:97], v[4:5], v[68:69]
	v_fmac_f64_e32 v[4:5], -0.5, v[98:99]
	v_add_f64 v[98:99], v[74:75], -v[78:79]
	v_fma_f64 v[124:125], s[6:7], v[98:99], v[4:5]
	v_fmac_f64_e32 v[4:5], s[2:3], v[98:99]
	v_add_f64 v[98:99], v[6:7], v[74:75]
	v_add_f64 v[74:75], v[74:75], v[78:79]
	v_fmac_f64_e32 v[6:7], -0.5, v[74:75]
	v_add_f64 v[68:69], v[68:69], -v[76:77]
	v_fma_f64 v[74:75], s[2:3], v[68:69], v[6:7]
	v_fmac_f64_e32 v[6:7], s[6:7], v[68:69]
	v_add_f64 v[68:69], v[70:71], v[60:61]
	v_add_f64 v[96:97], v[96:97], v[76:77]
	;; [unrolled: 1-line block ×4, first 2 shown]
	v_fmac_f64_e32 v[70:71], -0.5, v[68:69]
	v_add_f64 v[68:69], v[62:63], -v[66:67]
	v_add_f64 v[98:99], v[98:99], v[78:79]
	v_fma_f64 v[78:79], s[6:7], v[68:69], v[70:71]
	v_fmac_f64_e32 v[70:71], s[2:3], v[68:69]
	v_add_f64 v[68:69], v[72:73], v[62:63]
	v_add_f64 v[62:63], v[62:63], v[66:67]
	v_mul_f64 v[128:129], v[150:151], s[6:7]
	v_fmac_f64_e32 v[72:73], -0.5, v[62:63]
	v_add_f64 v[60:61], v[60:61], -v[64:65]
	v_fmac_f64_e32 v[128:129], -0.5, v[50:51]
	v_fma_f64 v[62:63], s[2:3], v[60:61], v[72:73]
	v_add_f64 v[48:49], v[16:17], v[128:129]
	v_add_f64 v[16:17], v[16:17], -v[128:129]
	v_add_f64 v[126:127], v[68:69], v[66:67]
	v_mul_f64 v[128:129], v[62:63], s[6:7]
	v_mul_f64 v[132:133], v[62:63], 0.5
	v_mul_f64 v[130:131], v[150:151], -0.5
	v_fmac_f64_e32 v[128:129], 0.5, v[78:79]
	v_add_f64 v[66:67], v[98:99], v[126:127]
	v_fmac_f64_e32 v[132:133], s[2:3], v[78:79]
	v_add_f64 v[78:79], v[98:99], -v[126:127]
	v_add_f64 v[98:99], v[88:89], v[120:121]
	v_fmac_f64_e32 v[130:131], s[2:3], v[50:51]
	v_fmac_f64_e32 v[72:73], s[6:7], v[60:61]
	v_add_f64 v[64:65], v[96:97], v[76:77]
	v_add_f64 v[76:77], v[96:97], -v[76:77]
	v_add_f64 v[96:97], v[8:9], v[88:89]
	v_fmac_f64_e32 v[8:9], -0.5, v[98:99]
	v_add_f64 v[98:99], v[94:95], -v[122:123]
	v_add_f64 v[50:51], v[18:19], v[130:131]
	v_add_f64 v[18:19], v[18:19], -v[130:131]
	v_add_f64 v[60:61], v[124:125], v[128:129]
	v_mul_f64 v[130:131], v[72:73], s[6:7]
	v_mul_f64 v[134:135], v[72:73], -0.5
	v_add_f64 v[72:73], v[124:125], -v[128:129]
	v_fma_f64 v[124:125], s[6:7], v[98:99], v[8:9]
	v_fmac_f64_e32 v[8:9], s[2:3], v[98:99]
	v_add_f64 v[98:99], v[10:11], v[94:95]
	v_add_f64 v[94:95], v[94:95], v[122:123]
	v_fmac_f64_e32 v[10:11], -0.5, v[94:95]
	v_add_f64 v[88:89], v[88:89], -v[120:121]
	v_fma_f64 v[94:95], s[2:3], v[88:89], v[10:11]
	v_fmac_f64_e32 v[10:11], s[6:7], v[88:89]
	v_add_f64 v[88:89], v[90:91], v[80:81]
	v_add_f64 v[96:97], v[96:97], v[120:121]
	;; [unrolled: 1-line block ×4, first 2 shown]
	v_fmac_f64_e32 v[90:91], -0.5, v[88:89]
	v_add_f64 v[88:89], v[82:83], -v[86:87]
	v_add_f64 v[98:99], v[98:99], v[122:123]
	v_fma_f64 v[122:123], s[6:7], v[88:89], v[90:91]
	v_fmac_f64_e32 v[90:91], s[2:3], v[88:89]
	v_add_f64 v[88:89], v[92:93], v[82:83]
	v_add_f64 v[82:83], v[82:83], v[86:87]
	v_fmac_f64_e32 v[92:93], -0.5, v[82:83]
	v_add_f64 v[80:81], v[80:81], -v[84:85]
	v_fma_f64 v[82:83], s[2:3], v[80:81], v[92:93]
	v_add_f64 v[62:63], v[74:75], v[132:133]
	v_add_f64 v[74:75], v[74:75], -v[132:133]
	v_fmac_f64_e32 v[92:93], s[6:7], v[80:81]
	v_mul_f64 v[128:129], v[82:83], s[6:7]
	v_mul_f64 v[132:133], v[82:83], 0.5
	v_mul_f64 v[116:117], v[222:223], v[174:175]
	v_fmac_f64_e32 v[130:131], -0.5, v[70:71]
	v_fmac_f64_e32 v[128:129], 0.5, v[122:123]
	v_fmac_f64_e32 v[132:133], s[2:3], v[122:123]
	v_mul_f64 v[122:123], v[92:93], -0.5
	v_fmac_f64_e32 v[116:117], v[220:221], v[172:173]
	v_add_f64 v[68:69], v[4:5], v[130:131]
	v_add_f64 v[4:5], v[4:5], -v[130:131]
	v_mul_f64 v[130:131], v[92:93], s[6:7]
	v_fmac_f64_e32 v[122:123], s[2:3], v[90:91]
	v_fmac_f64_e32 v[130:131], -0.5, v[90:91]
	v_add_f64 v[90:91], v[10:11], v[122:123]
	v_add_f64 v[10:11], v[10:11], -v[122:123]
	v_add_f64 v[122:123], v[108:109], v[116:117]
	v_add_f64 v[84:85], v[96:97], v[120:121]
	v_add_f64 v[96:97], v[96:97], -v[120:121]
	v_add_f64 v[120:121], v[0:1], v[108:109]
	v_fmac_f64_e32 v[0:1], -0.5, v[122:123]
	v_add_f64 v[122:123], v[106:107], -v[118:119]
	v_add_f64 v[80:81], v[124:125], v[128:129]
	v_add_f64 v[92:93], v[124:125], -v[128:129]
	v_fma_f64 v[124:125], s[6:7], v[122:123], v[0:1]
	v_fmac_f64_e32 v[0:1], s[2:3], v[122:123]
	v_add_f64 v[122:123], v[2:3], v[106:107]
	v_add_f64 v[106:107], v[106:107], v[118:119]
	;; [unrolled: 1-line block ×3, first 2 shown]
	v_fmac_f64_e32 v[2:3], -0.5, v[106:107]
	v_add_f64 v[106:107], v[108:109], -v[116:117]
	v_add_f64 v[86:87], v[98:99], v[126:127]
	v_add_f64 v[98:99], v[98:99], -v[126:127]
	v_fma_f64 v[126:127], s[2:3], v[106:107], v[2:3]
	v_fmac_f64_e32 v[2:3], s[6:7], v[106:107]
	v_add_f64 v[106:107], v[110:111], v[100:101]
	v_add_f64 v[120:121], v[120:121], v[116:117]
	;; [unrolled: 1-line block ×4, first 2 shown]
	v_fmac_f64_e32 v[110:111], -0.5, v[106:107]
	v_add_f64 v[106:107], v[102:103], -v[114:115]
	v_add_f64 v[100:101], v[100:101], -v[104:105]
	v_add_f64 v[104:105], v[120:121], v[116:117]
	v_add_f64 v[116:117], v[120:121], -v[116:117]
	v_mov_b32_e32 v120, 0x1680
	v_add_f64 v[122:123], v[122:123], v[118:119]
	v_fma_f64 v[118:119], s[6:7], v[106:107], v[110:111]
	v_fmac_f64_e32 v[110:111], s[2:3], v[106:107]
	v_add_f64 v[106:107], v[112:113], v[102:103]
	v_add_f64 v[102:103], v[102:103], v[114:115]
	v_cndmask_b32_e32 v120, 0, v120, vcc
	v_lshlrev_b32_e32 v121, 4, v181
	v_fmac_f64_e32 v[112:113], -0.5, v[102:103]
	v_add3_u32 v120, 0, v120, v121
	v_fma_f64 v[102:103], s[2:3], v[100:101], v[112:113]
	ds_write_b128 v120, v[24:27]
	ds_write_b128 v120, v[20:23] offset:960
	ds_write_b128 v120, v[28:31] offset:1920
	;; [unrolled: 1-line block ×5, first 2 shown]
	v_mul_u32_u24_e32 v12, 0x1680, v182
	v_lshlrev_b32_sdwa v13, v180, v176 dst_sel:DWORD dst_unused:UNUSED_PAD src0_sel:DWORD src1_sel:BYTE_0
	v_fmac_f64_e32 v[134:135], s[2:3], v[70:71]
	v_add_f64 v[128:129], v[106:107], v[114:115]
	v_fmac_f64_e32 v[112:113], s[6:7], v[100:101]
	v_mul_f64 v[114:115], v[102:103], s[6:7]
	v_add3_u32 v12, 0, v12, v13
	v_add_f64 v[70:71], v[6:7], v[134:135]
	v_add_f64 v[6:7], v[6:7], -v[134:135]
	v_add_f64 v[82:83], v[94:95], v[132:133]
	v_add_f64 v[94:95], v[94:95], -v[132:133]
	v_fmac_f64_e32 v[114:115], 0.5, v[118:119]
	v_mul_f64 v[132:133], v[102:103], 0.5
	v_mul_f64 v[134:135], v[112:113], -0.5
	ds_write_b128 v12, v[44:47]
	ds_write_b128 v12, v[40:43] offset:960
	ds_write_b128 v12, v[48:51] offset:1920
	;; [unrolled: 1-line block ×5, first 2 shown]
	v_mul_u32_u24_e32 v12, 0x1680, v183
	v_lshlrev_b32_e32 v13, 4, v216
	v_add_f64 v[88:89], v[8:9], v[130:131]
	v_add_f64 v[8:9], v[8:9], -v[130:131]
	v_add_f64 v[100:101], v[124:125], v[114:115]
	v_mul_f64 v[130:131], v[112:113], s[6:7]
	v_fmac_f64_e32 v[132:133], s[2:3], v[118:119]
	v_fmac_f64_e32 v[134:135], s[2:3], v[110:111]
	v_add_f64 v[112:113], v[124:125], -v[114:115]
	v_add3_u32 v12, 0, v12, v13
	v_lshl_add_u64 v[124:125], v[184:185], 4, s[4:5]
	s_movk_i32 s3, 0x1000
	ds_write_b128 v12, v[64:67]
	ds_write_b128 v12, v[60:63] offset:960
	ds_write_b128 v12, v[68:71] offset:1920
	;; [unrolled: 1-line block ×5, first 2 shown]
	v_add_co_u32_e32 v68, vcc, s3, v124
	v_add_f64 v[106:107], v[122:123], v[128:129]
	v_add_f64 v[118:119], v[122:123], -v[128:129]
	v_addc_co_u32_e32 v69, vcc, 0, v125, vcc
	v_lshl_add_u64 v[122:123], v[214:215], 4, s[4:5]
	v_add_co_u32_e32 v70, vcc, s3, v122
	v_lshl_add_u64 v[120:121], v[212:213], 4, s[4:5]
	s_nop 0
	v_addc_co_u32_e32 v71, vcc, 0, v123, vcc
	v_add_co_u32_e32 v48, vcc, s3, v120
	s_movk_i32 s2, 0x48
	s_nop 0
	v_addc_co_u32_e32 v49, vcc, 0, v121, vcc
	v_mul_u32_u24_e32 v4, 0x1680, v217
	v_lshlrev_b32_e32 v5, 4, v218
	v_add_u32_e32 v50, 0xffffffb8, v184
	v_cmp_gt_u32_e32 vcc, s2, v184
	v_add3_u32 v4, 0, v4, v5
	v_fmac_f64_e32 v[130:131], -0.5, v[110:111]
	v_cndmask_b32_e32 v176, v50, v210, vcc
	ds_write_b128 v4, v[84:87]
	ds_write_b128 v4, v[80:83] offset:960
	ds_write_b128 v4, v[88:91] offset:1920
	;; [unrolled: 1-line block ×5, first 2 shown]
	v_mul_u32_u24_e32 v4, 0x1680, v152
	v_lshlrev_b32_e32 v5, 4, v153
	v_lshl_add_u64 v[50:51], v[176:177], 4, s[4:5]
	v_add_f64 v[108:109], v[0:1], v[130:131]
	v_add_f64 v[110:111], v[2:3], v[134:135]
	v_add_f64 v[0:1], v[0:1], -v[130:131]
	v_add_f64 v[2:3], v[2:3], -v[134:135]
	v_add3_u32 v4, 0, v4, v5
	v_add_co_u32_e32 v72, vcc, s3, v50
	s_movk_i32 s6, 0x2d83
	v_accvgpr_read_b32 v253, a9
	v_add_f64 v[102:103], v[126:127], v[132:133]
	v_add_f64 v[114:115], v[126:127], -v[132:133]
	ds_write_b128 v4, v[104:107]
	ds_write_b128 v4, v[100:103] offset:960
	ds_write_b128 v4, v[108:111] offset:1920
	;; [unrolled: 1-line block ×5, first 2 shown]
	s_waitcnt lgkmcnt(0)
	s_barrier
	ds_read_b128 v[16:19], v226
	ds_read_b128 v[40:43], v226 offset:23040
	ds_read_b128 v[12:15], v235
	ds_read_b128 v[8:11], v234
	ds_read_b128 v[44:47], v226 offset:24576
	ds_read_b128 v[32:35], v226 offset:26112
	ds_read_b128 v[4:7], v232
	ds_read_b128 v[0:3], v233
	ds_read_b128 v[36:39], v226 offset:27648
	ds_read_b128 v[24:27], v226 offset:29184
	;; [unrolled: 1-line block ×4, first 2 shown]
	v_addc_co_u32_e32 v73, vcc, 0, v51, vcc
	global_load_dwordx4 v[52:55], v[48:49], off offset:1504
	s_nop 0
	global_load_dwordx4 v[48:51], v[72:73], off offset:1504
	global_load_dwordx4 v[56:59], v[68:69], off offset:1504
	;; [unrolled: 1-line block ×4, first 2 shown]
                                        ; kill: killed $vgpr70 killed $vgpr71
                                        ; kill: killed $vgpr72 killed $vgpr73
	s_nop 0
	global_load_dwordx4 v[68:71], v[68:69], off offset:3424
	v_mul_u32_u24_sdwa v72, v204, s6 dst_sel:DWORD dst_unused:UNUSED_PAD src0_sel:WORD_0 src1_sel:DWORD
	v_accvgpr_read_b32 v252, a8
	v_lshrrev_b32_e32 v146, 22, v72
	v_accvgpr_read_b32 v255, a11
	v_mul_lo_u16_e32 v72, 0x168, v146
	v_mul_u32_u24_sdwa v80, v252, s6 dst_sel:DWORD dst_unused:UNUSED_PAD src0_sel:WORD_0 src1_sel:DWORD
	v_accvgpr_read_b32 v254, a10
	s_movk_i32 s2, 0x2000
	v_sub_u16_e32 v72, v204, v72
	v_lshrrev_b32_e32 v80, 22, v80
	v_accvgpr_read_b32 v89, a16             ;  Reload Reuse
	v_add_co_u32_e32 v126, vcc, s2, v124
	v_lshlrev_b32_e32 v128, 4, v72
	v_mov_b32_e32 v129, v177
	v_mul_lo_u16_e32 v80, 0x168, v80
	v_mul_u32_u24_sdwa v82, v254, s6 dst_sel:DWORD dst_unused:UNUSED_PAD src0_sel:WORD_0 src1_sel:DWORD
	v_accvgpr_read_b32 v88, a17             ;  Reload Reuse
	v_addc_co_u32_e32 v127, vcc, 0, v125, vcc
	v_lshl_add_u64 v[72:73], s[4:5], 0, v[128:129]
	v_sub_u16_e32 v80, v252, v80
	v_lshrrev_b32_e32 v82, 22, v82
	v_mul_u32_u24_sdwa v88, v88, s6 dst_sel:DWORD dst_unused:UNUSED_PAD src0_sel:WORD_0 src1_sel:DWORD
	v_accvgpr_read_b32 v251, a7
	v_add_co_u32_e32 v76, vcc, s3, v72
	v_lshlrev_b32_e32 v130, 4, v80
	v_mov_b32_e32 v131, v177
	v_mul_lo_u16_e32 v82, 0x168, v82
	v_lshrrev_b32_e32 v88, 22, v88
	v_accvgpr_read_b32 v91, a16             ;  Reload Reuse
	v_accvgpr_read_b32 v250, a6
	v_addc_co_u32_e32 v77, vcc, 0, v73, vcc
	v_lshl_add_u64 v[80:81], s[4:5], 0, v[130:131]
	v_sub_u16_e32 v82, v254, v82
	v_mul_lo_u16_e32 v88, 0x168, v88
	v_accvgpr_read_b32 v90, a17             ;  Reload Reuse
	v_accvgpr_read_b32 v245, a1
	v_add_co_u32_e32 v80, vcc, s3, v80
	v_lshlrev_b32_e32 v132, 4, v82
	v_mov_b32_e32 v133, v177
	v_sub_u16_e32 v88, v90, v88
	v_mul_u32_u24_sdwa v90, v250, s6 dst_sel:DWORD dst_unused:UNUSED_PAD src0_sel:WORD_0 src1_sel:DWORD
	v_accvgpr_read_b32 v244, a0
	v_addc_co_u32_e32 v81, vcc, 0, v81, vcc
	v_lshl_add_u64 v[82:83], s[4:5], 0, v[132:133]
	v_lshrrev_b32_e32 v147, 22, v90
	v_accvgpr_read_b32 v249, a5
	v_add_co_u32_e32 v84, vcc, s3, v82
	v_lshlrev_b32_e32 v134, 4, v88
	v_mov_b32_e32 v135, v177
	v_mul_lo_u16_e32 v90, 0x168, v147
	v_mul_u32_u24_sdwa v96, v244, s6 dst_sel:DWORD dst_unused:UNUSED_PAD src0_sel:WORD_0 src1_sel:DWORD
	v_accvgpr_read_b32 v248, a4
	v_addc_co_u32_e32 v85, vcc, 0, v83, vcc
	v_lshl_add_u64 v[88:89], s[4:5], 0, v[134:135]
	v_sub_u16_e32 v90, v250, v90
	v_lshrrev_b32_e32 v96, 22, v96
	v_accvgpr_read_b32 v247, a3
	v_add_co_u32_e32 v88, vcc, s3, v88
	v_lshlrev_b32_e32 v136, 4, v90
	v_mov_b32_e32 v137, v177
	v_mul_lo_u16_e32 v96, 0x168, v96
	v_mul_u32_u24_sdwa v98, v248, s6 dst_sel:DWORD dst_unused:UNUSED_PAD src0_sel:WORD_0 src1_sel:DWORD
	v_accvgpr_read_b32 v246, a2
	v_addc_co_u32_e32 v89, vcc, 0, v89, vcc
	v_lshl_add_u64 v[90:91], s[4:5], 0, v[136:137]
	v_sub_u16_e32 v96, v244, v96
	v_lshrrev_b32_e32 v98, 22, v98
	v_add_co_u32_e32 v92, vcc, s3, v90
	v_lshlrev_b32_e32 v138, 4, v96
	v_mov_b32_e32 v139, v177
	v_mul_lo_u16_e32 v98, 0x168, v98
	v_mul_u32_u24_sdwa v104, v246, s6 dst_sel:DWORD dst_unused:UNUSED_PAD src0_sel:WORD_0 src1_sel:DWORD
	v_addc_co_u32_e32 v93, vcc, 0, v91, vcc
	v_lshl_add_u64 v[96:97], s[4:5], 0, v[138:139]
	v_sub_u16_e32 v98, v248, v98
	v_lshrrev_b32_e32 v104, 22, v104
	global_load_dwordx4 v[72:75], v[126:127], off offset:864
	s_nop 0
	global_load_dwordx4 v[76:79], v[76:77], off offset:1504
	s_nop 0
	;; [unrolled: 2-line block ×3, first 2 shown]
	global_load_dwordx4 v[84:87], v[84:85], off offset:1504
	v_add_co_u32_e32 v96, vcc, s3, v96
	v_lshlrev_b32_e32 v140, 4, v98
	v_mov_b32_e32 v141, v177
	v_mul_lo_u16_e32 v104, 0x168, v104
	v_addc_co_u32_e32 v97, vcc, 0, v97, vcc
	v_lshl_add_u64 v[98:99], s[4:5], 0, v[140:141]
	v_sub_u16_e32 v104, v246, v104
	global_load_dwordx4 v[88:91], v[88:89], off offset:1504
	s_nop 0
	global_load_dwordx4 v[92:95], v[92:93], off offset:1504
	v_add_co_u32_e32 v100, vcc, s3, v98
	v_lshlrev_b32_e32 v142, 4, v104
	v_mov_b32_e32 v143, v177
	v_addc_co_u32_e32 v101, vcc, 0, v99, vcc
	v_lshl_add_u64 v[104:105], s[4:5], 0, v[142:143]
	global_load_dwordx4 v[96:99], v[96:97], off offset:1504
	s_nop 0
	global_load_dwordx4 v[100:103], v[100:101], off offset:1504
	v_add_co_u32_e32 v104, vcc, s3, v104
	v_accvgpr_read_b32 v241, a13
	s_nop 0
	v_addc_co_u32_e32 v105, vcc, 0, v105, vcc
	global_load_dwordx4 v[104:107], v[104:105], off offset:1504
	v_accvgpr_read_b32 v240, a12
	v_lshl_add_u32 v145, v240, 4, 0
	v_lshl_add_u32 v139, v252, 4, 0
	;; [unrolled: 1-line block ×3, first 2 shown]
	ds_read_b128 v[148:151], v145
	ds_read_b128 v[152:155], v144
	ds_read_b128 v[108:111], v226 offset:33792
	ds_read_b128 v[112:115], v226 offset:35328
	v_lshl_add_u32 v137, v254, 4, 0
	ds_read_b128 v[156:159], v139
	ds_read_b128 v[160:163], v137
	;; [unrolled: 1-line block ×4, first 2 shown]
	ds_read_b128 v[116:119], v226 offset:36864
	ds_read_b128 v[172:175], v226 offset:38400
	v_lshl_add_u32 v135, v250, 4, 0
	s_waitcnt vmcnt(12) lgkmcnt(14)
	v_mul_f64 v[182:183], v[42:43], v[58:59]
	v_lshl_add_u32 v133, v244, 4, 0
	ds_read_b128 v[178:181], v135
	ds_read_b128 v[190:193], v133
	ds_read_b128 v[194:197], v226 offset:39936
	ds_read_b128 v[198:201], v226 offset:41472
	v_fmac_f64_e32 v[182:183], v[40:41], v[56:57]
	v_mul_f64 v[40:41], v[40:41], v[58:59]
	v_lshl_add_u32 v131, v248, 4, 0
	v_fma_f64 v[56:57], v[42:43], v[56:57], -v[40:41]
	s_waitcnt vmcnt(10)
	v_mul_f64 v[58:59], v[46:47], v[66:67]
	v_mul_f64 v[40:41], v[44:45], v[66:67]
	;; [unrolled: 1-line block ×3, first 2 shown]
	v_lshl_add_u32 v129, v246, 4, 0
	ds_read_b128 v[206:209], v131
	ds_read_b128 v[216:219], v129
	v_fmac_f64_e32 v[58:59], v[44:45], v[64:65]
	v_fma_f64 v[64:65], v[46:47], v[64:65], -v[40:41]
	ds_read_b128 v[40:43], v226 offset:43008
	ds_read_b128 v[44:47], v226 offset:44544
	v_fmac_f64_e32 v[66:67], v[32:33], v[52:53]
	v_mul_f64 v[32:33], v[32:33], v[54:55]
	v_fma_f64 v[32:33], v[34:35], v[52:53], -v[32:33]
	s_waitcnt lgkmcnt(14)
	v_mul_f64 v[34:35], v[38:39], v[50:51]
	v_fmac_f64_e32 v[34:35], v[36:37], v[48:49]
	v_mul_f64 v[36:37], v[36:37], v[50:51]
	v_fma_f64 v[36:37], v[38:39], v[48:49], -v[36:37]
	v_mul_f64 v[38:39], v[26:27], v[62:63]
	v_fmac_f64_e32 v[38:39], v[24:25], v[60:61]
	v_mul_f64 v[24:25], v[24:25], v[62:63]
	v_fma_f64 v[24:25], v[26:27], v[60:61], -v[24:25]
	s_waitcnt vmcnt(9)
	v_mul_f64 v[26:27], v[30:31], v[70:71]
	v_fmac_f64_e32 v[26:27], v[28:29], v[68:69]
	v_mul_f64 v[28:29], v[28:29], v[70:71]
	v_fma_f64 v[28:29], v[30:31], v[68:69], -v[28:29]
	s_movk_i32 s3, 0x47
	s_waitcnt lgkmcnt(0)
	s_barrier
	v_cmp_lt_u32_e32 vcc, s3, v184
	v_add_f64 v[68:69], v[164:165], -v[26:27]
	v_add_f64 v[70:71], v[166:167], -v[28:29]
	s_movk_i32 s3, 0x3000
	s_waitcnt vmcnt(8)
	v_mul_f64 v[30:31], v[22:23], v[74:75]
	s_waitcnt vmcnt(6)
	v_mul_f64 v[50:51], v[114:115], v[82:83]
	;; [unrolled: 2-line block ×3, first 2 shown]
	v_fma_f64 v[220:221], v[118:119], v[84:85], -v[54:55]
	v_mul_f64 v[52:53], v[112:113], v[82:83]
	v_mul_f64 v[188:189], v[118:119], v[86:87]
	v_fmac_f64_e32 v[30:31], v[20:21], v[72:73]
	v_mul_f64 v[20:21], v[20:21], v[74:75]
	v_fmac_f64_e32 v[50:51], v[112:113], v[80:81]
	v_fma_f64 v[52:53], v[114:115], v[80:81], -v[52:53]
	v_fmac_f64_e32 v[188:189], v[116:117], v[84:85]
	s_waitcnt vmcnt(4)
	v_mul_f64 v[222:223], v[174:175], v[90:91]
	v_mul_f64 v[54:55], v[172:173], v[90:91]
	v_fmac_f64_e32 v[222:223], v[172:173], v[88:89]
	v_fma_f64 v[172:173], v[174:175], v[88:89], -v[54:55]
	s_waitcnt vmcnt(3)
	v_mul_f64 v[174:175], v[196:197], v[94:95]
	v_mul_f64 v[54:55], v[194:195], v[94:95]
	v_fmac_f64_e32 v[174:175], v[194:195], v[92:93]
	v_fma_f64 v[194:195], v[196:197], v[92:93], -v[54:55]
	;; [unrolled: 5-line block ×3, first 2 shown]
	s_waitcnt vmcnt(1)
	v_mul_f64 v[200:201], v[42:43], v[102:103]
	v_fmac_f64_e32 v[200:201], v[40:41], v[100:101]
	v_mul_f64 v[40:41], v[40:41], v[102:103]
	v_fma_f64 v[224:225], v[42:43], v[100:101], -v[40:41]
	s_waitcnt vmcnt(0)
	v_mul_f64 v[236:237], v[46:47], v[106:107]
	v_mul_f64 v[40:41], v[44:45], v[106:107]
	v_add_f64 v[88:89], v[16:17], -v[182:183]
	v_add_f64 v[90:91], v[18:19], -v[56:57]
	v_fmac_f64_e32 v[236:237], v[44:45], v[104:105]
	v_fma_f64 v[238:239], v[46:47], v[104:105], -v[40:41]
	v_fma_f64 v[104:105], v[16:17], 2.0, -v[88:89]
	v_fma_f64 v[106:107], v[18:19], 2.0, -v[90:91]
	v_add_f64 v[96:97], v[12:13], -v[58:59]
	v_add_f64 v[98:99], v[14:15], -v[64:65]
	;; [unrolled: 1-line block ×4, first 2 shown]
	v_fma_f64 v[112:113], v[12:13], 2.0, -v[96:97]
	v_fma_f64 v[114:115], v[14:15], 2.0, -v[98:99]
	v_fma_f64 v[116:117], v[8:9], 2.0, -v[100:101]
	v_fma_f64 v[118:119], v[10:11], 2.0, -v[102:103]
	ds_write_b128 v226, v[104:107]
	ds_write_b128 v226, v[88:91] offset:5760
	ds_write_b128 v235, v[112:115]
	ds_write_b128 v235, v[96:99] offset:5760
	;; [unrolled: 2-line block ×3, first 2 shown]
	v_mov_b32_e32 v88, 0x2d00
	v_fma_f64 v[20:21], v[22:23], v[72:73], -v[20:21]
	v_mul_f64 v[22:23], v[110:111], v[78:79]
	v_mul_f64 v[48:49], v[108:109], v[78:79]
	v_add_f64 v[92:93], v[4:5], -v[34:35]
	v_add_f64 v[94:95], v[6:7], -v[36:37]
	v_cndmask_b32_e32 v88, 0, v88, vcc
	v_lshlrev_b32_e32 v89, 4, v176
	v_fmac_f64_e32 v[22:23], v[108:109], v[76:77]
	v_fma_f64 v[48:49], v[110:111], v[76:77], -v[48:49]
	v_fma_f64 v[108:109], v[4:5], 2.0, -v[92:93]
	v_fma_f64 v[110:111], v[6:7], 2.0, -v[94:95]
	v_add_f64 v[76:77], v[0:1], -v[38:39]
	v_add_f64 v[78:79], v[2:3], -v[24:25]
	;; [unrolled: 1-line block ×4, first 2 shown]
	v_add3_u32 v88, 0, v88, v89
	v_fma_f64 v[84:85], v[0:1], 2.0, -v[76:77]
	v_fma_f64 v[86:87], v[2:3], 2.0, -v[78:79]
	;; [unrolled: 1-line block ×6, first 2 shown]
	v_add_f64 v[56:57], v[152:153], -v[22:23]
	v_add_f64 v[58:59], v[154:155], -v[48:49]
	ds_write_b128 v88, v[108:111]
	ds_write_b128 v88, v[92:95] offset:5760
	ds_write_b128 v226, v[84:87] offset:11904
	;; [unrolled: 1-line block ×7, first 2 shown]
	v_mul_u32_u24_e32 v64, 0x2d00, v146
	v_fma_f64 v[60:61], v[152:153], 2.0, -v[56:57]
	v_fma_f64 v[62:63], v[154:155], 2.0, -v[58:59]
	v_add_f64 v[48:49], v[156:157], -v[50:51]
	v_add_f64 v[50:51], v[158:159], -v[52:53]
	v_add3_u32 v64, 0, v64, v128
	v_fma_f64 v[52:53], v[156:157], 2.0, -v[48:49]
	v_fma_f64 v[54:55], v[158:159], 2.0, -v[50:51]
	v_add_f64 v[40:41], v[160:161], -v[188:189]
	v_add_f64 v[42:43], v[162:163], -v[220:221]
	ds_write_b128 v64, v[60:63]
	ds_write_b128 v64, v[56:59] offset:5760
	v_add_u32_e32 v56, 0, v130
	v_fma_f64 v[44:45], v[160:161], 2.0, -v[40:41]
	v_fma_f64 v[46:47], v[162:163], 2.0, -v[42:43]
	v_add_f64 v[32:33], v[168:169], -v[222:223]
	v_add_f64 v[34:35], v[170:171], -v[172:173]
	ds_write_b128 v56, v[52:55] offset:23040
	ds_write_b128 v56, v[48:51] offset:28800
	v_add_u32_e32 v48, 0, v132
	v_fma_f64 v[36:37], v[168:169], 2.0, -v[32:33]
	v_fma_f64 v[38:39], v[170:171], 2.0, -v[34:35]
	ds_write_b128 v48, v[44:47] offset:23040
	ds_write_b128 v48, v[40:43] offset:28800
	v_add_u32_e32 v40, 0, v134
	ds_write_b128 v40, v[36:39] offset:23040
	ds_write_b128 v40, v[32:35] offset:28800
	v_add_co_u32_e32 v36, vcc, s2, v122
	v_lshl_add_u64 v[98:99], v[210:211], 4, s[4:5]
	s_nop 0
	v_addc_co_u32_e32 v37, vcc, 0, v123, vcc
	v_add_co_u32_e32 v38, vcc, s2, v120
	v_add_f64 v[10:11], v[208:209], -v[224:225]
	s_nop 0
	v_addc_co_u32_e32 v39, vcc, 0, v121, vcc
	v_add_co_u32_e32 v44, vcc, s2, v98
	v_accvgpr_read_b32 v225, a15
	s_nop 0
	v_addc_co_u32_e32 v45, vcc, 0, v99, vcc
	v_lshl_add_u64 v[96:97], v[202:203], 4, s[4:5]
	v_accvgpr_read_b32 v224, a14
	v_add_co_u32_e32 v46, vcc, s2, v96
	v_add_f64 v[24:25], v[178:179], -v[174:175]
	v_add_f64 v[26:27], v[180:181], -v[194:195]
	v_mul_u32_u24_e32 v32, 0x2d00, v147
	v_addc_co_u32_e32 v47, vcc, 0, v97, vcc
	v_lshl_add_u64 v[94:95], v[224:225], 4, s[4:5]
	v_fma_f64 v[28:29], v[178:179], 2.0, -v[24:25]
	v_fma_f64 v[30:31], v[180:181], 2.0, -v[26:27]
	v_add_f64 v[16:17], v[190:191], -v[196:197]
	v_add_f64 v[18:19], v[192:193], -v[198:199]
	v_add3_u32 v32, 0, v32, v136
	v_add_co_u32_e32 v52, vcc, s2, v94
	v_fma_f64 v[20:21], v[190:191], 2.0, -v[16:17]
	v_fma_f64 v[22:23], v[192:193], 2.0, -v[18:19]
	v_add_f64 v[8:9], v[206:207], -v[200:201]
	ds_write_b128 v32, v[28:31]
	ds_write_b128 v32, v[24:27] offset:5760
	v_add_u32_e32 v24, 0, v138
	v_addc_co_u32_e32 v53, vcc, 0, v95, vcc
	v_lshl_add_u64 v[92:93], v[240:241], 4, s[4:5]
	v_fma_f64 v[12:13], v[206:207], 2.0, -v[8:9]
	v_fma_f64 v[14:15], v[208:209], 2.0, -v[10:11]
	v_add_f64 v[0:1], v[216:217], -v[236:237]
	v_add_f64 v[2:3], v[218:219], -v[238:239]
	ds_write_b128 v24, v[20:23] offset:34560
	ds_write_b128 v24, v[16:19] offset:40320
	v_add_u32_e32 v16, 0, v140
	v_add_co_u32_e32 v54, vcc, s2, v92
	v_fma_f64 v[4:5], v[216:217], 2.0, -v[0:1]
	v_fma_f64 v[6:7], v[218:219], 2.0, -v[2:3]
	ds_write_b128 v16, v[12:15] offset:34560
	ds_write_b128 v16, v[8:11] offset:40320
	v_add_u32_e32 v8, 0, v142
	v_addc_co_u32_e32 v55, vcc, 0, v93, vcc
	ds_write_b128 v8, v[4:7] offset:34560
	ds_write_b128 v8, v[0:3] offset:40320
	s_waitcnt lgkmcnt(0)
	s_barrier
	ds_read_b128 v[8:11], v226
	ds_read_b128 v[16:19], v226 offset:23040
	ds_read_b128 v[4:7], v235
	ds_read_b128 v[0:3], v234
	ds_read_b128 v[20:23], v226 offset:24576
	ds_read_b128 v[12:15], v226 offset:26112
	global_load_dwordx4 v[24:27], v[126:127], off offset:3168
	global_load_dwordx4 v[32:35], v[36:37], off offset:3168
	;; [unrolled: 1-line block ×4, first 2 shown]
	s_nop 0
	global_load_dwordx4 v[36:39], v[46:47], off offset:3168
	global_load_dwordx4 v[48:51], v[52:53], off offset:3168
	s_nop 0
	global_load_dwordx4 v[44:47], v[54:55], off offset:3168
	v_subrev_u32_e32 v52, 48, v184
	v_cmp_gt_u32_e32 vcc, 48, v184
	s_nop 1
	v_cndmask_b32_e32 v176, v52, v204, vcc
	v_lshl_add_u64 v[52:53], v[176:177], 4, s[4:5]
	v_add_co_u32_e32 v56, vcc, s2, v52
	s_nop 1
	v_addc_co_u32_e32 v57, vcc, 0, v53, vcc
	v_add_co_u32_e32 v58, vcc, s3, v124
	global_load_dwordx4 v[52:55], v[126:127], off offset:3936
	s_nop 0
	v_addc_co_u32_e32 v59, vcc, 0, v125, vcc
	global_load_dwordx4 v[100:103], v[56:57], off offset:3168
	global_load_dwordx4 v[104:107], v[58:59], off offset:1376
	v_add_u32_e32 v56, 0x150, v184
	v_mov_b32_e32 v57, v177
	v_lshl_add_u64 v[56:57], v[56:57], 4, s[4:5]
	v_add_co_u32_e32 v56, vcc, s2, v56
	s_waitcnt vmcnt(9) lgkmcnt(4)
	v_mul_f64 v[126:127], v[18:19], v[26:27]
	v_addc_co_u32_e32 v57, vcc, 0, v57, vcc
	global_load_dwordx4 v[108:111], v[58:59], off offset:2912
	global_load_dwordx4 v[112:115], v[56:57], off offset:3168
	v_add_u32_e32 v56, 0x1b0, v184
	v_mov_b32_e32 v57, v177
	v_lshl_add_u64 v[56:57], v[56:57], 4, s[4:5]
	v_add_co_u32_e32 v56, vcc, s2, v56
	v_add_u32_e32 v58, 0x210, v184
	v_mov_b32_e32 v59, v177
	v_addc_co_u32_e32 v57, vcc, 0, v57, vcc
	v_lshl_add_u64 v[58:59], v[58:59], 4, s[4:5]
	v_add_co_u32_e32 v58, vcc, s2, v58
	v_fmac_f64_e32 v[126:127], v[16:17], v[24:25]
	s_nop 0
	v_addc_co_u32_e32 v59, vcc, 0, v59, vcc
	global_load_dwordx4 v[116:119], v[56:57], off offset:3168
	global_load_dwordx4 v[140:143], v[58:59], off offset:3168
	v_add_u32_e32 v56, 0x270, v184
	v_mov_b32_e32 v57, v177
	v_lshl_add_u64 v[56:57], v[56:57], 4, s[4:5]
	v_add_co_u32_e32 v56, vcc, s2, v56
	v_mul_f64 v[16:17], v[16:17], v[26:27]
	s_nop 0
	v_addc_co_u32_e32 v57, vcc, 0, v57, vcc
	global_load_dwordx4 v[146:149], v[56:57], off offset:3168
	v_fma_f64 v[16:17], v[18:19], v[24:25], -v[16:17]
	s_waitcnt vmcnt(13) lgkmcnt(1)
	v_mul_f64 v[18:19], v[22:23], v[34:35]
	v_fmac_f64_e32 v[18:19], v[20:21], v[32:33]
	v_mul_f64 v[20:21], v[20:21], v[34:35]
	v_fma_f64 v[20:21], v[22:23], v[32:33], -v[20:21]
	s_waitcnt vmcnt(12) lgkmcnt(0)
	v_mul_f64 v[22:23], v[14:15], v[30:31]
	v_fmac_f64_e32 v[22:23], v[12:13], v[28:29]
	v_mul_f64 v[12:13], v[12:13], v[30:31]
	ds_read_b128 v[150:153], v232
	ds_read_b128 v[154:157], v233
	ds_read_b128 v[158:161], v226 offset:27648
	ds_read_b128 v[162:165], v226 offset:29184
	;; [unrolled: 1-line block ×4, first 2 shown]
	ds_read_b128 v[88:91], v145
	ds_read_b128 v[84:87], v144
	ds_read_b128 v[178:181], v226 offset:33792
	ds_read_b128 v[190:193], v226 offset:35328
	ds_read_b128 v[80:83], v139
	ds_read_b128 v[76:79], v137
	;; [unrolled: 1-line block ×4, first 2 shown]
	ds_read_b128 v[198:201], v226 offset:36864
	ds_read_b128 v[206:209], v226 offset:38400
	ds_read_b128 v[68:71], v135
	ds_read_b128 v[64:67], v133
	ds_read_b128 v[216:219], v226 offset:39936
	ds_read_b128 v[220:223], v226 offset:41472
	ds_read_b128 v[60:63], v131
	ds_read_b128 v[56:59], v129
	ds_read_b128 v[236:239], v226 offset:43008
	ds_read_b128 v[240:243], v226 offset:44544
	v_fma_f64 v[12:13], v[14:15], v[28:29], -v[12:13]
	s_waitcnt vmcnt(10) lgkmcnt(14)
	v_mul_f64 v[26:27], v[164:165], v[38:39]
	v_mul_f64 v[28:29], v[162:163], v[38:39]
	v_fmac_f64_e32 v[26:27], v[162:163], v[36:37]
	v_fma_f64 v[28:29], v[164:165], v[36:37], -v[28:29]
	s_waitcnt vmcnt(8)
	v_mul_f64 v[34:35], v[172:173], v[46:47]
	v_mul_f64 v[36:37], v[170:171], v[46:47]
	v_fmac_f64_e32 v[34:35], v[170:171], v[44:45]
	v_fma_f64 v[36:37], v[172:173], v[44:45], -v[36:37]
	s_waitcnt vmcnt(7)
	v_mul_f64 v[44:45], v[190:191], v[54:55]
	v_fma_f64 v[46:47], v[192:193], v[52:53], -v[44:45]
	s_waitcnt vmcnt(5) lgkmcnt(9)
	v_mul_f64 v[44:45], v[198:199], v[106:107]
	v_mul_f64 v[14:15], v[160:161], v[42:43]
	;; [unrolled: 1-line block ×6, first 2 shown]
	v_fma_f64 v[50:51], v[200:201], v[104:105], -v[44:45]
	v_fmac_f64_e32 v[14:15], v[158:159], v[40:41]
	v_fma_f64 v[24:25], v[160:161], v[40:41], -v[24:25]
	v_fmac_f64_e32 v[38:39], v[178:179], v[100:101]
	v_mul_f64 v[40:41], v[178:179], v[102:103]
	v_mul_f64 v[42:43], v[192:193], v[54:55]
	v_fmac_f64_e32 v[30:31], v[166:167], v[48:49]
	v_fma_f64 v[32:33], v[168:169], v[48:49], -v[32:33]
	v_fmac_f64_e32 v[42:43], v[190:191], v[52:53]
	v_mul_f64 v[48:49], v[200:201], v[106:107]
	v_fma_f64 v[40:41], v[180:181], v[100:101], -v[40:41]
	v_fmac_f64_e32 v[48:49], v[198:199], v[104:105]
	v_add_f64 v[52:53], v[8:9], -v[126:127]
	v_add_f64 v[54:55], v[10:11], -v[16:17]
	v_fma_f64 v[100:101], v[8:9], 2.0, -v[52:53]
	v_fma_f64 v[102:103], v[10:11], 2.0, -v[54:55]
	v_add_f64 v[104:105], v[4:5], -v[18:19]
	v_add_f64 v[106:107], v[6:7], -v[20:21]
	;; [unrolled: 1-line block ×6, first 2 shown]
	v_fma_f64 v[162:163], v[194:195], 2.0, -v[158:159]
	v_fma_f64 v[164:165], v[196:197], 2.0, -v[160:161]
	;; [unrolled: 1-line block ×4, first 2 shown]
	s_waitcnt vmcnt(4) lgkmcnt(0)
	v_mul_f64 v[44:45], v[206:207], v[110:111]
	v_fma_f64 v[178:179], v[208:209], v[108:109], -v[44:45]
	s_waitcnt vmcnt(3)
	v_mul_f64 v[44:45], v[216:217], v[114:115]
	v_fma_f64 v[182:183], v[218:219], v[112:113], -v[44:45]
	v_mul_f64 v[174:175], v[208:209], v[110:111]
	v_mul_f64 v[180:181], v[218:219], v[114:115]
	v_fmac_f64_e32 v[174:175], v[206:207], v[108:109]
	v_fmac_f64_e32 v[180:181], v[216:217], v[112:113]
	v_add_f64 v[112:113], v[0:1], -v[22:23]
	v_add_f64 v[114:115], v[2:3], -v[12:13]
	v_fma_f64 v[108:109], v[4:5], 2.0, -v[104:105]
	v_fma_f64 v[110:111], v[6:7], 2.0, -v[106:107]
	s_barrier
	v_cmp_lt_u32_e32 vcc, 47, v184
	v_add_f64 v[170:171], v[84:85], -v[38:39]
	s_waitcnt vmcnt(2)
	v_mul_f64 v[44:45], v[220:221], v[118:119]
	v_fma_f64 v[190:191], v[222:223], v[116:117], -v[44:45]
	s_waitcnt vmcnt(1)
	v_mul_f64 v[192:193], v[238:239], v[142:143]
	v_mul_f64 v[44:45], v[236:237], v[142:143]
	v_fmac_f64_e32 v[192:193], v[236:237], v[140:141]
	v_fma_f64 v[198:199], v[238:239], v[140:141], -v[44:45]
	v_add_f64 v[140:141], v[150:151], -v[14:15]
	v_add_f64 v[142:143], v[152:153], -v[24:25]
	v_mul_f64 v[188:189], v[222:223], v[118:119]
	v_fmac_f64_e32 v[188:189], v[220:221], v[116:117]
	s_waitcnt vmcnt(0)
	v_mul_f64 v[200:201], v[242:243], v[148:149]
	v_mul_f64 v[44:45], v[240:241], v[148:149]
	v_fmac_f64_e32 v[200:201], v[240:241], v[146:147]
	v_fma_f64 v[206:207], v[242:243], v[146:147], -v[44:45]
	v_fma_f64 v[146:147], v[150:151], 2.0, -v[140:141]
	v_fma_f64 v[148:149], v[152:153], 2.0, -v[142:143]
	v_add_f64 v[150:151], v[154:155], -v[26:27]
	v_add_f64 v[152:153], v[156:157], -v[28:29]
	v_fma_f64 v[116:117], v[0:1], 2.0, -v[112:113]
	v_fma_f64 v[118:119], v[2:3], 2.0, -v[114:115]
	;; [unrolled: 1-line block ×4, first 2 shown]
	ds_write_b128 v226, v[100:103]
	ds_write_b128 v226, v[52:55] offset:11520
	ds_write_b128 v235, v[108:111]
	ds_write_b128 v235, v[104:107] offset:11520
	;; [unrolled: 2-line block ×7, first 2 shown]
	v_mov_b32_e32 v52, 0x5a00
	v_add_f64 v[172:173], v[86:87], -v[40:41]
	v_add_f64 v[12:13], v[64:65], -v[188:189]
	v_cndmask_b32_e32 v52, 0, v52, vcc
	v_lshlrev_b32_e32 v53, 4, v176
	v_fma_f64 v[84:85], v[84:85], 2.0, -v[170:171]
	v_fma_f64 v[86:87], v[86:87], 2.0, -v[172:173]
	v_add_f64 v[44:45], v[80:81], -v[42:43]
	v_add_f64 v[46:47], v[82:83], -v[46:47]
	;; [unrolled: 1-line block ×9, first 2 shown]
	v_fma_f64 v[24:25], v[64:65], 2.0, -v[12:13]
	v_add_f64 v[4:5], v[60:61], -v[192:193]
	v_add_f64 v[6:7], v[62:63], -v[198:199]
	;; [unrolled: 1-line block ×4, first 2 shown]
	v_add3_u32 v52, 0, v52, v53
	s_movk_i32 s2, 0x5000
	v_fma_f64 v[80:81], v[80:81], 2.0, -v[44:45]
	v_fma_f64 v[82:83], v[82:83], 2.0, -v[46:47]
	;; [unrolled: 1-line block ×13, first 2 shown]
	ds_write_b128 v52, v[84:87]
	ds_write_b128 v52, v[170:173] offset:11520
	ds_write_b128 v226, v[80:83] offset:23808
	;; [unrolled: 1-line block ×15, first 2 shown]
	v_add_co_u32_e32 v24, vcc, s2, v124
	s_waitcnt lgkmcnt(0)
	s_nop 0
	v_addc_co_u32_e32 v25, vcc, 0, v125, vcc
	v_add_co_u32_e32 v28, vcc, s2, v122
	s_barrier
	s_nop 0
	v_addc_co_u32_e32 v29, vcc, 0, v123, vcc
	v_add_co_u32_e32 v40, vcc, s2, v120
	s_nop 1
	v_addc_co_u32_e32 v41, vcc, 0, v121, vcc
	v_add_co_u32_e32 v42, vcc, s2, v98
	ds_read_b128 v[8:11], v226
	ds_read_b128 v[16:19], v226 offset:23040
	ds_read_b128 v[4:7], v235
	ds_read_b128 v[0:3], v234
	ds_read_b128 v[20:23], v226 offset:24576
	ds_read_b128 v[12:15], v226 offset:26112
	v_addc_co_u32_e32 v43, vcc, 0, v99, vcc
	v_add_co_u32_e32 v48, vcc, s2, v96
	global_load_dwordx4 v[24:27], v[24:25], off offset:2400
	s_nop 0
	global_load_dwordx4 v[28:31], v[28:29], off offset:2400
	v_addc_co_u32_e32 v49, vcc, 0, v97, vcc
	v_add_co_u32_e32 v50, vcc, s2, v94
	global_load_dwordx4 v[32:35], v[40:41], off offset:2400
	global_load_dwordx4 v[36:39], v[42:43], off offset:2400
	v_addc_co_u32_e32 v51, vcc, 0, v95, vcc
	v_add_co_u32_e32 v56, vcc, s2, v92
	global_load_dwordx4 v[40:43], v[48:49], off offset:2400
	global_load_dwordx4 v[44:47], v[50:51], off offset:2400
	v_addc_co_u32_e32 v57, vcc, 0, v93, vcc
	v_lshl_add_u64 v[48:49], v[204:205], 4, s[4:5]
	v_add_co_u32_e32 v58, vcc, s2, v48
	v_accvgpr_read_b32 v217, a16            ;  Reload Reuse
	s_nop 0
	v_addc_co_u32_e32 v59, vcc, 0, v49, vcc
	global_load_dwordx4 v[48:51], v[56:57], off offset:2400
	global_load_dwordx4 v[52:55], v[58:59], off offset:2400
	v_lshl_add_u64 v[56:57], v[252:253], 4, s[4:5]
	v_add_co_u32_e32 v64, vcc, s2, v56
	v_accvgpr_read_b32 v216, a17            ;  Reload Reuse
	s_nop 0
	v_addc_co_u32_e32 v65, vcc, 0, v57, vcc
	v_lshl_add_u64 v[56:57], v[254:255], 4, s[4:5]
	v_add_co_u32_e32 v66, vcc, s2, v56
	v_lshl_add_u64 v[80:81], v[246:247], 4, s[4:5]
	s_nop 0
	v_addc_co_u32_e32 v67, vcc, 0, v57, vcc
	global_load_dwordx4 v[56:59], v[64:65], off offset:2400
	global_load_dwordx4 v[60:63], v[66:67], off offset:2400
	v_lshl_add_u64 v[64:65], v[216:217], 4, s[4:5]
	v_add_co_u32_e32 v72, vcc, s2, v64
	s_waitcnt vmcnt(9) lgkmcnt(4)
	v_mul_f64 v[182:183], v[18:19], v[26:27]
	v_addc_co_u32_e32 v73, vcc, 0, v65, vcc
	v_lshl_add_u64 v[64:65], v[250:251], 4, s[4:5]
	v_add_co_u32_e32 v74, vcc, s2, v64
	v_fmac_f64_e32 v[182:183], v[16:17], v[24:25]
	s_nop 0
	v_addc_co_u32_e32 v75, vcc, 0, v65, vcc
	global_load_dwordx4 v[64:67], v[72:73], off offset:2400
	global_load_dwordx4 v[68:71], v[74:75], off offset:2400
	v_lshl_add_u64 v[72:73], v[244:245], 4, s[4:5]
	v_add_co_u32_e32 v72, vcc, s2, v72
	v_lshl_add_u64 v[74:75], v[248:249], 4, s[4:5]
	s_nop 0
	v_addc_co_u32_e32 v73, vcc, 0, v73, vcc
	v_add_co_u32_e32 v76, vcc, s2, v74
	v_mul_f64 v[16:17], v[16:17], v[26:27]
	s_nop 0
	v_addc_co_u32_e32 v77, vcc, 0, v75, vcc
	v_add_co_u32_e32 v80, vcc, s2, v80
	global_load_dwordx4 v[72:75], v[72:73], off offset:2400
	s_nop 0
	global_load_dwordx4 v[76:79], v[76:77], off offset:2400
	v_addc_co_u32_e32 v81, vcc, 0, v81, vcc
	global_load_dwordx4 v[80:83], v[80:81], off offset:2400
	v_fma_f64 v[16:17], v[18:19], v[24:25], -v[16:17]
	s_waitcnt vmcnt(13) lgkmcnt(1)
	v_mul_f64 v[18:19], v[22:23], v[30:31]
	v_fmac_f64_e32 v[18:19], v[20:21], v[28:29]
	v_mul_f64 v[20:21], v[20:21], v[30:31]
	v_fma_f64 v[20:21], v[22:23], v[28:29], -v[20:21]
	s_waitcnt vmcnt(12) lgkmcnt(0)
	v_mul_f64 v[22:23], v[14:15], v[34:35]
	v_fmac_f64_e32 v[22:23], v[12:13], v[32:33]
	v_mul_f64 v[12:13], v[12:13], v[34:35]
	ds_read_b128 v[88:91], v232
	ds_read_b128 v[112:115], v233
	ds_read_b128 v[84:87], v226 offset:27648
	ds_read_b128 v[92:95], v226 offset:29184
	;; [unrolled: 1-line block ×4, first 2 shown]
	ds_read_b128 v[116:119], v145
	ds_read_b128 v[120:123], v144
	ds_read_b128 v[104:107], v226 offset:33792
	ds_read_b128 v[108:111], v226 offset:35328
	ds_read_b128 v[124:127], v139
	ds_read_b128 v[140:143], v137
	;; [unrolled: 1-line block ×4, first 2 shown]
	ds_read_b128 v[154:157], v226 offset:36864
	ds_read_b128 v[158:161], v226 offset:38400
	ds_read_b128 v[162:165], v135
	ds_read_b128 v[166:169], v133
	ds_read_b128 v[170:173], v226 offset:39936
	ds_read_b128 v[174:177], v226 offset:41472
	ds_read_b128 v[178:181], v131
	ds_read_b128 v[190:193], v129
	ds_read_b128 v[194:197], v226 offset:43008
	ds_read_b128 v[198:201], v226 offset:44544
	v_fma_f64 v[12:13], v[14:15], v[32:33], -v[12:13]
	s_waitcnt vmcnt(9) lgkmcnt(14)
	v_mul_f64 v[30:31], v[98:99], v[46:47]
	v_mul_f64 v[32:33], v[96:97], v[46:47]
	v_fmac_f64_e32 v[30:31], v[96:97], v[44:45]
	v_fma_f64 v[32:33], v[98:99], v[44:45], -v[32:33]
	s_waitcnt vmcnt(6)
	v_mul_f64 v[44:45], v[108:109], v[58:59]
	v_mul_f64 v[14:15], v[86:87], v[38:39]
	v_mul_f64 v[24:25], v[84:85], v[38:39]
	v_fma_f64 v[46:47], v[110:111], v[56:57], -v[44:45]
	s_waitcnt vmcnt(5) lgkmcnt(9)
	v_mul_f64 v[44:45], v[154:155], v[62:63]
	v_fmac_f64_e32 v[14:15], v[84:85], v[36:37]
	v_fma_f64 v[24:25], v[86:87], v[36:37], -v[24:25]
	v_mul_f64 v[34:35], v[102:103], v[50:51]
	v_mul_f64 v[36:37], v[100:101], v[50:51]
	v_fma_f64 v[50:51], v[156:157], v[60:61], -v[44:45]
	v_mul_f64 v[26:27], v[94:95], v[42:43]
	v_mul_f64 v[28:29], v[92:93], v[42:43]
	v_fmac_f64_e32 v[26:27], v[92:93], v[40:41]
	v_fma_f64 v[28:29], v[94:95], v[40:41], -v[28:29]
	v_fmac_f64_e32 v[34:35], v[100:101], v[48:49]
	v_fma_f64 v[36:37], v[102:103], v[48:49], -v[36:37]
	v_mul_f64 v[38:39], v[106:107], v[54:55]
	v_mul_f64 v[40:41], v[104:105], v[54:55]
	v_mul_f64 v[42:43], v[110:111], v[58:59]
	v_mul_f64 v[48:49], v[156:157], v[62:63]
	v_add_f64 v[96:97], v[0:1], -v[22:23]
	v_add_f64 v[98:99], v[2:3], -v[12:13]
	v_fmac_f64_e32 v[38:39], v[104:105], v[52:53]
	v_fma_f64 v[40:41], v[106:107], v[52:53], -v[40:41]
	v_fmac_f64_e32 v[42:43], v[108:109], v[56:57]
	v_fmac_f64_e32 v[48:49], v[154:155], v[60:61]
	v_add_f64 v[100:101], v[8:9], -v[182:183]
	v_add_f64 v[102:103], v[10:11], -v[16:17]
	;; [unrolled: 1-line block ×4, first 2 shown]
	v_fma_f64 v[108:109], v[0:1], 2.0, -v[96:97]
	v_fma_f64 v[110:111], v[2:3], 2.0, -v[98:99]
	;; [unrolled: 1-line block ×4, first 2 shown]
	v_add_f64 v[84:85], v[88:89], -v[14:15]
	v_add_f64 v[86:87], v[90:91], -v[24:25]
	;; [unrolled: 1-line block ×9, first 2 shown]
	v_fma_f64 v[92:93], v[88:89], 2.0, -v[84:85]
	v_fma_f64 v[94:95], v[90:91], 2.0, -v[86:87]
	;; [unrolled: 1-line block ×4, first 2 shown]
	s_waitcnt vmcnt(4) lgkmcnt(8)
	v_mul_f64 v[44:45], v[158:159], v[66:67]
	v_fma_f64 v[206:207], v[160:161], v[64:65], -v[44:45]
	s_waitcnt vmcnt(3) lgkmcnt(5)
	v_mul_f64 v[208:209], v[172:173], v[70:71]
	v_mul_f64 v[44:45], v[170:171], v[70:71]
	v_fmac_f64_e32 v[208:209], v[170:171], v[68:69]
	v_fma_f64 v[170:171], v[172:173], v[68:69], -v[44:45]
	v_mul_f64 v[188:189], v[160:161], v[66:67]
	v_fmac_f64_e32 v[188:189], v[158:159], v[64:65]
	v_fma_f64 v[158:159], v[4:5], 2.0, -v[104:105]
	v_fma_f64 v[160:161], v[6:7], 2.0, -v[106:107]
	v_add_f64 v[68:69], v[146:147], -v[30:31]
	v_add_f64 v[70:71], v[148:149], -v[32:33]
	;; [unrolled: 1-line block ×4, first 2 shown]
	s_waitcnt vmcnt(2) lgkmcnt(4)
	v_mul_f64 v[172:173], v[176:177], v[74:75]
	v_mul_f64 v[44:45], v[174:175], v[74:75]
	v_fmac_f64_e32 v[172:173], v[174:175], v[72:73]
	v_fma_f64 v[174:175], v[176:177], v[72:73], -v[44:45]
	s_waitcnt vmcnt(1) lgkmcnt(1)
	v_mul_f64 v[176:177], v[196:197], v[78:79]
	v_mul_f64 v[44:45], v[194:195], v[78:79]
	v_fmac_f64_e32 v[176:177], v[194:195], v[76:77]
	v_fma_f64 v[194:195], v[196:197], v[76:77], -v[44:45]
	;; [unrolled: 5-line block ×3, first 2 shown]
	v_add_f64 v[0:1], v[190:191], -v[196:197]
	v_add_f64 v[2:3], v[192:193], -v[198:199]
	;; [unrolled: 1-line block ×11, first 2 shown]
	v_fma_f64 v[8:9], v[190:191], 2.0, -v[0:1]
	v_fma_f64 v[10:11], v[192:193], 2.0, -v[2:3]
	;; [unrolled: 1-line block ×20, first 2 shown]
	s_barrier
	ds_write_b128 v226, v[154:157]
	ds_write_b128 v226, v[100:103] offset:23040
	ds_write_b128 v235, v[158:161]
	ds_write_b128 v235, v[104:107] offset:23040
	ds_write_b128 v234, v[108:111]
	ds_write_b128 v234, v[96:99] offset:23040
	ds_write_b128 v232, v[92:95]
	ds_write_b128 v232, v[84:87] offset:23040
	ds_write_b128 v233, v[88:91]
	ds_write_b128 v233, v[76:79] offset:23040
	ds_write_b128 v231, v[80:83]
	ds_write_b128 v231, v[68:71] offset:23040
	ds_write_b128 v145, v[72:75]
	ds_write_b128 v145, v[60:63] offset:23040
	ds_write_b128 v144, v[64:67]
	ds_write_b128 v144, v[52:55] offset:23040
	ds_write_b128 v139, v[56:59]
	ds_write_b128 v139, v[44:47] offset:23040
	ds_write_b128 v137, v[48:51]
	ds_write_b128 v137, v[36:39] offset:23040
	ds_write_b128 v228, v[40:43]
	ds_write_b128 v228, v[28:31] offset:23040
	ds_write_b128 v135, v[32:35]
	ds_write_b128 v135, v[20:23] offset:23040
	ds_write_b128 v133, v[24:27]
	ds_write_b128 v133, v[12:15] offset:23040
	ds_write_b128 v131, v[16:19]
	ds_write_b128 v131, v[4:7] offset:23040
	ds_write_b128 v129, v[8:11]
	ds_write_b128 v129, v[0:3] offset:23040
	s_waitcnt lgkmcnt(0)
	s_barrier
	ds_read_b128 v[8:11], v226
	s_add_u32 s2, s4, 0xb360
	s_addc_u32 s3, s5, 0
	v_sub_u32_e32 v16, 0, v227
	v_cmp_ne_u32_e32 vcc, 0, v184
                                        ; implicit-def: $vgpr6_vgpr7
                                        ; implicit-def: $vgpr2_vgpr3
	s_and_saveexec_b64 s[4:5], vcc
	s_xor_b64 s[4:5], exec, s[4:5]
	s_cbranch_execz .LBB0_15
; %bb.14:
	v_lshl_add_u64 v[0:1], v[184:185], 4, s[2:3]
	global_load_dwordx4 v[12:15], v[0:1], off
	ds_read_b128 v[0:3], v16 offset:46080
	s_waitcnt lgkmcnt(0)
	v_add_f64 v[4:5], v[8:9], v[0:1]
	v_add_f64 v[0:1], v[8:9], -v[0:1]
	v_add_f64 v[6:7], v[10:11], v[2:3]
	v_add_f64 v[2:3], v[10:11], -v[2:3]
	v_mul_f64 v[8:9], v[0:1], 0.5
	v_mul_f64 v[6:7], v[6:7], 0.5
	;; [unrolled: 1-line block ×3, first 2 shown]
	s_waitcnt vmcnt(0)
	v_mul_f64 v[10:11], v[8:9], v[14:15]
	v_fma_f64 v[2:3], v[6:7], v[14:15], v[0:1]
	v_fma_f64 v[14:15], v[6:7], v[14:15], -v[0:1]
	v_fma_f64 v[0:1], 0.5, v[4:5], v[10:11]
	v_fma_f64 v[4:5], v[4:5], 0.5, -v[10:11]
	v_fma_f64 v[2:3], -v[12:13], v[8:9], v[2:3]
	v_fmac_f64_e32 v[0:1], v[6:7], v[12:13]
	v_fma_f64 v[4:5], -v[6:7], v[12:13], v[4:5]
	v_fma_f64 v[6:7], -v[12:13], v[8:9], v[14:15]
                                        ; implicit-def: $vgpr8_vgpr9
.LBB0_15:
	s_or_saveexec_b64 s[4:5], s[4:5]
	v_mul_i32_i24_e32 v12, 0xffffff70, v214
	v_mul_i32_i24_e32 v13, 0xffffff70, v212
	s_xor_b64 exec, exec, s[4:5]
	s_cbranch_execz .LBB0_17
; %bb.16:
	v_mov_b32_e32 v14, 0
	ds_read_b64 v[6:7], v14 offset:23048
	v_mov_b64_e32 v[2:3], 0
	s_waitcnt lgkmcnt(1)
	v_add_f64 v[0:1], v[8:9], v[10:11]
	v_add_f64 v[4:5], v[8:9], -v[10:11]
	s_waitcnt lgkmcnt(0)
	v_xor_b32_e32 v7, 0x80000000, v7
	ds_write_b64 v14, v[6:7] offset:23048
	v_mov_b64_e32 v[6:7], v[2:3]
.LBB0_17:
	s_or_b64 exec, exec, s[4:5]
	s_waitcnt lgkmcnt(0)
	v_lshl_add_u64 v[8:9], v[214:215], 4, s[2:3]
	global_load_dwordx4 v[18:21], v[8:9], off
	v_lshl_add_u64 v[8:9], v[212:213], 4, s[2:3]
	global_load_dwordx4 v[22:25], v[8:9], off
	;; [unrolled: 2-line block ×3, first 2 shown]
	ds_write_b128 v226, v[0:3]
	ds_write_b128 v16, v[4:7] offset:46080
	v_add_u32_e32 v17, v229, v12
	v_lshl_add_u64 v[8:9], v[202:203], 4, s[2:3]
	ds_read_b128 v[0:3], v17
	ds_read_b128 v[4:7], v16 offset:44544
	global_load_dwordx4 v[8:11], v[8:9], off
	v_add_u32_e32 v30, v230, v13
	s_waitcnt lgkmcnt(0)
	v_add_f64 v[12:13], v[0:1], v[4:5]
	v_add_f64 v[0:1], v[0:1], -v[4:5]
	v_add_f64 v[14:15], v[2:3], v[6:7]
	v_add_f64 v[2:3], v[2:3], -v[6:7]
	v_mul_f64 v[6:7], v[0:1], 0.5
	v_mul_f64 v[4:5], v[14:15], 0.5
	;; [unrolled: 1-line block ×3, first 2 shown]
	s_waitcnt vmcnt(3)
	v_mul_f64 v[14:15], v[6:7], v[20:21]
	v_fma_f64 v[2:3], v[4:5], v[20:21], v[0:1]
	v_fma_f64 v[20:21], v[4:5], v[20:21], -v[0:1]
	v_fma_f64 v[0:1], 0.5, v[12:13], v[14:15]
	v_fma_f64 v[2:3], -v[18:19], v[6:7], v[2:3]
	v_fma_f64 v[12:13], v[12:13], 0.5, -v[14:15]
	v_fmac_f64_e32 v[0:1], v[4:5], v[18:19]
	v_fma_f64 v[6:7], -v[18:19], v[6:7], v[20:21]
	v_fma_f64 v[4:5], -v[4:5], v[18:19], v[12:13]
	ds_write_b128 v17, v[0:3]
	ds_write_b128 v16, v[4:7] offset:44544
	v_lshl_add_u64 v[12:13], v[224:225], 4, s[2:3]
	ds_read_b128 v[0:3], v30
	ds_read_b128 v[4:7], v16 offset:43008
	global_load_dwordx4 v[12:15], v[12:13], off
	s_waitcnt lgkmcnt(0)
	v_add_f64 v[18:19], v[0:1], v[4:5]
	v_add_f64 v[0:1], v[0:1], -v[4:5]
	v_add_f64 v[20:21], v[2:3], v[6:7]
	v_add_f64 v[2:3], v[2:3], -v[6:7]
	v_mul_f64 v[6:7], v[0:1], 0.5
	v_mul_f64 v[4:5], v[20:21], 0.5
	;; [unrolled: 1-line block ×3, first 2 shown]
	s_waitcnt vmcnt(3)
	v_mul_f64 v[20:21], v[6:7], v[24:25]
	v_fma_f64 v[2:3], v[4:5], v[24:25], v[0:1]
	v_fma_f64 v[24:25], v[4:5], v[24:25], -v[0:1]
	v_fma_f64 v[0:1], 0.5, v[18:19], v[20:21]
	v_fma_f64 v[2:3], -v[22:23], v[6:7], v[2:3]
	v_fma_f64 v[18:19], v[18:19], 0.5, -v[20:21]
	v_fmac_f64_e32 v[0:1], v[4:5], v[22:23]
	v_fma_f64 v[6:7], -v[22:23], v[6:7], v[24:25]
	v_fma_f64 v[4:5], -v[4:5], v[22:23], v[18:19]
	ds_write_b128 v30, v[0:3]
	ds_write_b128 v16, v[4:7] offset:43008
	v_accvgpr_read_b32 v0, a12
	v_accvgpr_read_b32 v1, a13
	v_lshl_add_u64 v[0:1], v[0:1], 4, s[2:3]
	ds_read_b128 v[4:7], v232
	ds_read_b128 v[18:21], v16 offset:41472
	global_load_dwordx4 v[0:3], v[0:1], off
	s_waitcnt lgkmcnt(0)
	v_add_f64 v[22:23], v[4:5], v[18:19]
	v_add_f64 v[4:5], v[4:5], -v[18:19]
	v_add_f64 v[24:25], v[6:7], v[20:21]
	v_add_f64 v[6:7], v[6:7], -v[20:21]
	v_mul_f64 v[20:21], v[4:5], 0.5
	v_mul_f64 v[18:19], v[24:25], 0.5
	;; [unrolled: 1-line block ×3, first 2 shown]
	s_waitcnt vmcnt(3)
	v_mul_f64 v[24:25], v[20:21], v[28:29]
	v_fma_f64 v[6:7], v[18:19], v[28:29], v[4:5]
	v_fma_f64 v[28:29], v[18:19], v[28:29], -v[4:5]
	v_fma_f64 v[4:5], 0.5, v[22:23], v[24:25]
	v_fma_f64 v[6:7], -v[26:27], v[20:21], v[6:7]
	v_fma_f64 v[22:23], v[22:23], 0.5, -v[24:25]
	v_fmac_f64_e32 v[4:5], v[18:19], v[26:27]
	v_fma_f64 v[20:21], -v[26:27], v[20:21], v[28:29]
	v_fma_f64 v[18:19], -v[18:19], v[26:27], v[22:23]
	ds_write_b128 v232, v[4:7]
	ds_write_b128 v16, v[18:21] offset:41472
	v_lshl_add_u64 v[4:5], v[204:205], 4, s[2:3]
	ds_read_b128 v[18:21], v233
	ds_read_b128 v[22:25], v16 offset:39936
	global_load_dwordx4 v[4:7], v[4:5], off
	s_waitcnt lgkmcnt(0)
	v_add_f64 v[26:27], v[18:19], v[22:23]
	v_add_f64 v[18:19], v[18:19], -v[22:23]
	v_add_f64 v[28:29], v[20:21], v[24:25]
	v_add_f64 v[20:21], v[20:21], -v[24:25]
	v_mul_f64 v[24:25], v[18:19], 0.5
	v_mul_f64 v[22:23], v[28:29], 0.5
	;; [unrolled: 1-line block ×3, first 2 shown]
	s_waitcnt vmcnt(3)
	v_mul_f64 v[28:29], v[24:25], v[10:11]
	v_fma_f64 v[20:21], v[22:23], v[10:11], v[18:19]
	v_fma_f64 v[10:11], v[22:23], v[10:11], -v[18:19]
	v_fma_f64 v[18:19], 0.5, v[26:27], v[28:29]
	v_fma_f64 v[26:27], v[26:27], 0.5, -v[28:29]
	v_fma_f64 v[20:21], -v[8:9], v[24:25], v[20:21]
	v_fma_f64 v[10:11], -v[8:9], v[24:25], v[10:11]
	v_fmac_f64_e32 v[18:19], v[22:23], v[8:9]
	v_fma_f64 v[8:9], -v[22:23], v[8:9], v[26:27]
	ds_write_b128 v233, v[18:21]
	ds_write_b128 v16, v[8:11] offset:39936
	v_lshl_add_u64 v[8:9], v[252:253], 4, s[2:3]
	ds_read_b128 v[18:21], v231
	ds_read_b128 v[22:25], v16 offset:38400
	global_load_dwordx4 v[8:11], v[8:9], off
	s_waitcnt lgkmcnt(0)
	v_add_f64 v[26:27], v[18:19], v[22:23]
	v_add_f64 v[18:19], v[18:19], -v[22:23]
	v_add_f64 v[28:29], v[20:21], v[24:25]
	v_add_f64 v[20:21], v[20:21], -v[24:25]
	v_mul_f64 v[24:25], v[18:19], 0.5
	v_mul_f64 v[22:23], v[28:29], 0.5
	;; [unrolled: 1-line block ×3, first 2 shown]
	s_waitcnt vmcnt(3)
	v_mul_f64 v[28:29], v[24:25], v[14:15]
	v_fma_f64 v[20:21], v[22:23], v[14:15], v[18:19]
	v_fma_f64 v[14:15], v[22:23], v[14:15], -v[18:19]
	v_fma_f64 v[18:19], 0.5, v[26:27], v[28:29]
	v_fma_f64 v[26:27], v[26:27], 0.5, -v[28:29]
	v_fma_f64 v[20:21], -v[12:13], v[24:25], v[20:21]
	v_fma_f64 v[14:15], -v[12:13], v[24:25], v[14:15]
	v_fmac_f64_e32 v[18:19], v[22:23], v[12:13]
	v_fma_f64 v[12:13], -v[22:23], v[12:13], v[26:27]
	ds_write_b128 v231, v[18:21]
	ds_write_b128 v16, v[12:15] offset:38400
	v_lshl_add_u64 v[12:13], v[254:255], 4, s[2:3]
	ds_read_b128 v[18:21], v145
	ds_read_b128 v[22:25], v16 offset:36864
	global_load_dwordx4 v[12:15], v[12:13], off
	s_waitcnt lgkmcnt(0)
	v_add_f64 v[26:27], v[18:19], v[22:23]
	v_add_f64 v[18:19], v[18:19], -v[22:23]
	v_add_f64 v[28:29], v[20:21], v[24:25]
	v_add_f64 v[20:21], v[20:21], -v[24:25]
	v_mul_f64 v[24:25], v[18:19], 0.5
	v_mul_f64 v[22:23], v[28:29], 0.5
	;; [unrolled: 1-line block ×3, first 2 shown]
	s_waitcnt vmcnt(3)
	v_mul_f64 v[28:29], v[24:25], v[2:3]
	v_fma_f64 v[20:21], v[22:23], v[2:3], v[18:19]
	v_fma_f64 v[2:3], v[22:23], v[2:3], -v[18:19]
	v_fma_f64 v[18:19], 0.5, v[26:27], v[28:29]
	v_fma_f64 v[26:27], v[26:27], 0.5, -v[28:29]
	v_fma_f64 v[20:21], -v[0:1], v[24:25], v[20:21]
	v_fmac_f64_e32 v[18:19], v[22:23], v[0:1]
	v_fma_f64 v[22:23], -v[22:23], v[0:1], v[26:27]
	v_fma_f64 v[24:25], -v[0:1], v[24:25], v[2:3]
	ds_write_b128 v145, v[18:21]
	ds_write_b128 v16, v[22:25] offset:36864
	v_lshl_add_u64 v[0:1], v[216:217], 4, s[2:3]
	ds_read_b128 v[18:21], v144
	ds_read_b128 v[22:25], v16 offset:35328
	global_load_dwordx4 v[0:3], v[0:1], off
	s_waitcnt lgkmcnt(0)
	v_add_f64 v[26:27], v[18:19], v[22:23]
	v_add_f64 v[18:19], v[18:19], -v[22:23]
	v_add_f64 v[28:29], v[20:21], v[24:25]
	v_add_f64 v[20:21], v[20:21], -v[24:25]
	v_mul_f64 v[22:23], v[18:19], 0.5
	v_mul_f64 v[28:29], v[28:29], 0.5
	v_mul_f64 v[24:25], v[20:21], 0.5
	s_waitcnt vmcnt(3)
	v_mul_f64 v[30:31], v[22:23], v[6:7]
	v_fma_f64 v[18:19], 0.5, v[26:27], v[30:31]
	v_fma_f64 v[20:21], v[28:29], v[6:7], v[24:25]
	v_fmac_f64_e32 v[18:19], v[28:29], v[4:5]
	v_fma_f64 v[20:21], -v[4:5], v[22:23], v[20:21]
	ds_write_b128 v144, v[18:21]
	v_fma_f64 v[18:19], v[26:27], 0.5, -v[30:31]
	v_fma_f64 v[6:7], v[28:29], v[6:7], -v[24:25]
	v_fma_f64 v[18:19], -v[28:29], v[4:5], v[18:19]
	v_fma_f64 v[20:21], -v[4:5], v[22:23], v[6:7]
	ds_write_b128 v16, v[18:21] offset:35328
	v_lshl_add_u64 v[4:5], v[250:251], 4, s[2:3]
	ds_read_b128 v[18:21], v139
	ds_read_b128 v[22:25], v16 offset:33792
	global_load_dwordx4 v[4:7], v[4:5], off
	s_waitcnt lgkmcnt(0)
	v_add_f64 v[26:27], v[18:19], v[22:23]
	v_add_f64 v[18:19], v[18:19], -v[22:23]
	v_add_f64 v[28:29], v[20:21], v[24:25]
	v_add_f64 v[20:21], v[20:21], -v[24:25]
	v_mul_f64 v[22:23], v[18:19], 0.5
	v_mul_f64 v[28:29], v[28:29], 0.5
	v_mul_f64 v[24:25], v[20:21], 0.5
	s_waitcnt vmcnt(3)
	v_mul_f64 v[30:31], v[22:23], v[10:11]
	v_fma_f64 v[18:19], 0.5, v[26:27], v[30:31]
	v_fma_f64 v[20:21], v[28:29], v[10:11], v[24:25]
	v_fmac_f64_e32 v[18:19], v[28:29], v[8:9]
	v_fma_f64 v[20:21], -v[8:9], v[22:23], v[20:21]
	ds_write_b128 v139, v[18:21]
	v_fma_f64 v[18:19], v[26:27], 0.5, -v[30:31]
	v_fma_f64 v[10:11], v[28:29], v[10:11], -v[24:25]
	v_fma_f64 v[18:19], -v[28:29], v[8:9], v[18:19]
	v_fma_f64 v[20:21], -v[8:9], v[22:23], v[10:11]
	;; [unrolled: 24-line block ×5, first 2 shown]
	ds_write_b128 v16, v[0:3] offset:29184
	ds_read_b128 v[0:3], v133
	ds_read_b128 v[4:7], v16 offset:27648
	s_waitcnt lgkmcnt(0)
	v_add_f64 v[8:9], v[0:1], v[4:5]
	v_add_f64 v[0:1], v[0:1], -v[4:5]
	v_add_f64 v[10:11], v[2:3], v[6:7]
	v_add_f64 v[2:3], v[2:3], -v[6:7]
	v_mul_f64 v[4:5], v[0:1], 0.5
	v_mul_f64 v[10:11], v[10:11], 0.5
	v_mul_f64 v[6:7], v[2:3], 0.5
	s_waitcnt vmcnt(2)
	v_mul_f64 v[26:27], v[4:5], v[24:25]
	v_fma_f64 v[0:1], 0.5, v[8:9], v[26:27]
	v_fma_f64 v[2:3], v[10:11], v[24:25], v[6:7]
	v_fmac_f64_e32 v[0:1], v[10:11], v[22:23]
	v_fma_f64 v[2:3], -v[22:23], v[4:5], v[2:3]
	ds_write_b128 v133, v[0:3]
	v_fma_f64 v[0:1], v[8:9], 0.5, -v[26:27]
	v_fma_f64 v[2:3], v[10:11], v[24:25], -v[6:7]
	v_fma_f64 v[0:1], -v[10:11], v[22:23], v[0:1]
	v_fma_f64 v[2:3], -v[22:23], v[4:5], v[2:3]
	ds_write_b128 v16, v[0:3] offset:27648
	ds_read_b128 v[0:3], v131
	ds_read_b128 v[4:7], v16 offset:26112
	s_waitcnt lgkmcnt(0)
	v_add_f64 v[8:9], v[0:1], v[4:5]
	v_add_f64 v[0:1], v[0:1], -v[4:5]
	v_add_f64 v[10:11], v[2:3], v[6:7]
	v_add_f64 v[2:3], v[2:3], -v[6:7]
	v_mul_f64 v[4:5], v[0:1], 0.5
	v_mul_f64 v[10:11], v[10:11], 0.5
	v_mul_f64 v[6:7], v[2:3], 0.5
	s_waitcnt vmcnt(1)
	v_mul_f64 v[22:23], v[4:5], v[20:21]
	v_fma_f64 v[0:1], 0.5, v[8:9], v[22:23]
	v_fma_f64 v[2:3], v[10:11], v[20:21], v[6:7]
	v_fmac_f64_e32 v[0:1], v[10:11], v[18:19]
	v_fma_f64 v[2:3], -v[18:19], v[4:5], v[2:3]
	ds_write_b128 v131, v[0:3]
	v_fma_f64 v[0:1], v[8:9], 0.5, -v[22:23]
	v_fma_f64 v[2:3], v[10:11], v[20:21], -v[6:7]
	v_fma_f64 v[0:1], -v[10:11], v[18:19], v[0:1]
	v_fma_f64 v[2:3], -v[18:19], v[4:5], v[2:3]
	;; [unrolled: 22-line block ×3, first 2 shown]
	ds_write_b128 v16, v[0:3] offset:24576
	s_waitcnt lgkmcnt(0)
	s_barrier
	s_and_saveexec_b64 s[2:3], s[0:1]
	s_cbranch_execz .LBB0_20
; %bb.18:
	ds_read_b128 v[0:3], v226
	ds_read_b128 v[4:7], v226 offset:1536
	ds_read_b128 v[8:11], v226 offset:3072
	v_lshl_add_u64 v[12:13], v[184:185], 4, v[186:187]
	s_movk_i32 s0, 0x5f
	v_cmp_eq_u32_e32 vcc, s0, v184
	s_waitcnt lgkmcnt(2)
	global_store_dwordx4 v[12:13], v[0:3], off
	s_waitcnt lgkmcnt(1)
	global_store_dwordx4 v[12:13], v[4:7], off offset:1536
	ds_read_b128 v[2:5], v226 offset:4608
	v_add_u32_e32 v0, 0x120, v184
	v_mov_b32_e32 v1, 0
	s_waitcnt lgkmcnt(1)
	global_store_dwordx4 v[12:13], v[8:11], off offset:3072
	ds_read_b128 v[6:9], v226 offset:6144
	s_nop 0
	v_lshl_add_u64 v[10:11], v[0:1], 4, v[186:187]
	s_waitcnt lgkmcnt(1)
	global_store_dwordx4 v[10:11], v[2:5], off
	ds_read_b128 v[2:5], v226 offset:7680
	v_or_b32_e32 v0, 0x180, v184
	v_lshl_add_u64 v[10:11], v[0:1], 4, v[186:187]
	v_add_u32_e32 v0, 0x1e0, v184
	s_waitcnt lgkmcnt(1)
	global_store_dwordx4 v[10:11], v[6:9], off
	ds_read_b128 v[6:9], v226 offset:9216
	v_lshl_add_u64 v[10:11], v[0:1], 4, v[186:187]
	s_waitcnt lgkmcnt(1)
	global_store_dwordx4 v[10:11], v[2:5], off
	ds_read_b128 v[2:5], v226 offset:10752
	v_add_u32_e32 v0, 0x240, v184
	v_lshl_add_u64 v[10:11], v[0:1], 4, v[186:187]
	v_add_u32_e32 v0, 0x2a0, v184
	s_waitcnt lgkmcnt(1)
	global_store_dwordx4 v[10:11], v[6:9], off
	ds_read_b128 v[6:9], v226 offset:12288
	v_lshl_add_u64 v[10:11], v[0:1], 4, v[186:187]
	s_waitcnt lgkmcnt(1)
	global_store_dwordx4 v[10:11], v[2:5], off
	ds_read_b128 v[2:5], v226 offset:13824
	v_or_b32_e32 v0, 0x300, v184
	v_lshl_add_u64 v[10:11], v[0:1], 4, v[186:187]
	v_add_u32_e32 v0, 0x360, v184
	s_waitcnt lgkmcnt(1)
	global_store_dwordx4 v[10:11], v[6:9], off
	ds_read_b128 v[6:9], v226 offset:15360
	v_lshl_add_u64 v[10:11], v[0:1], 4, v[186:187]
	s_waitcnt lgkmcnt(1)
	global_store_dwordx4 v[10:11], v[2:5], off
	ds_read_b128 v[2:5], v226 offset:16896
	v_add_u32_e32 v0, 0x3c0, v184
	v_lshl_add_u64 v[10:11], v[0:1], 4, v[186:187]
	v_add_u32_e32 v0, 0x420, v184
	s_waitcnt lgkmcnt(1)
	global_store_dwordx4 v[10:11], v[6:9], off
	ds_read_b128 v[6:9], v226 offset:18432
	;; [unrolled: 20-line block ×4, first 2 shown]
	v_lshl_add_u64 v[10:11], v[0:1], 4, v[186:187]
	s_waitcnt lgkmcnt(1)
	global_store_dwordx4 v[10:11], v[2:5], off
	ds_read_b128 v[2:5], v226 offset:32256
	v_or_b32_e32 v0, 0x780, v184
	v_lshl_add_u64 v[10:11], v[0:1], 4, v[186:187]
	v_add_u32_e32 v0, 0x7e0, v184
	s_waitcnt lgkmcnt(1)
	global_store_dwordx4 v[10:11], v[6:9], off
	v_lshl_add_u64 v[10:11], v[0:1], 4, v[186:187]
	ds_read_b128 v[6:9], v226 offset:33792
	s_waitcnt lgkmcnt(1)
	global_store_dwordx4 v[10:11], v[2:5], off
	ds_read_b128 v[2:5], v226 offset:35328
	v_add_u32_e32 v0, 0x840, v184
	v_lshl_add_u64 v[10:11], v[0:1], 4, v[186:187]
	v_add_u32_e32 v0, 0x8a0, v184
	s_waitcnt lgkmcnt(1)
	global_store_dwordx4 v[10:11], v[6:9], off
	v_lshl_add_u64 v[10:11], v[0:1], 4, v[186:187]
	ds_read_b128 v[6:9], v226 offset:36864
	s_waitcnt lgkmcnt(1)
	global_store_dwordx4 v[10:11], v[2:5], off
	ds_read_b128 v[2:5], v226 offset:38400
	v_or_b32_e32 v0, 0x900, v184
	v_lshl_add_u64 v[10:11], v[0:1], 4, v[186:187]
	v_add_u32_e32 v0, 0x960, v184
	s_waitcnt lgkmcnt(1)
	global_store_dwordx4 v[10:11], v[6:9], off
	v_lshl_add_u64 v[10:11], v[0:1], 4, v[186:187]
	ds_read_b128 v[6:9], v226 offset:39936
	s_waitcnt lgkmcnt(1)
	global_store_dwordx4 v[10:11], v[2:5], off
	ds_read_b128 v[2:5], v226 offset:41472
	v_add_u32_e32 v0, 0x9c0, v184
	v_lshl_add_u64 v[10:11], v[0:1], 4, v[186:187]
	v_add_u32_e32 v0, 0xa20, v184
	s_waitcnt lgkmcnt(1)
	global_store_dwordx4 v[10:11], v[6:9], off
	v_lshl_add_u64 v[10:11], v[0:1], 4, v[186:187]
	ds_read_b128 v[6:9], v226 offset:43008
	s_waitcnt lgkmcnt(1)
	global_store_dwordx4 v[10:11], v[2:5], off
	ds_read_b128 v[2:5], v226 offset:44544
	v_or_b32_e32 v0, 0xa80, v184
	v_lshl_add_u64 v[10:11], v[0:1], 4, v[186:187]
	v_add_u32_e32 v0, 0xae0, v184
	s_waitcnt lgkmcnt(1)
	global_store_dwordx4 v[10:11], v[6:9], off
	s_nop 1
	v_lshl_add_u64 v[6:7], v[0:1], 4, v[186:187]
	s_waitcnt lgkmcnt(0)
	global_store_dwordx4 v[6:7], v[2:5], off
	s_and_b64 exec, exec, vcc
	s_cbranch_execz .LBB0_20
; %bb.19:
	ds_read_b128 v[0:3], v1 offset:46080
	v_add_co_u32_e32 v4, vcc, 0xb000, v186
	s_nop 1
	v_addc_co_u32_e32 v5, vcc, 0, v187, vcc
	s_waitcnt lgkmcnt(0)
	global_store_dwordx4 v[4:5], v[0:3], off offset:1024
.LBB0_20:
	s_endpgm
	.section	.rodata,"a",@progbits
	.p2align	6, 0x0
	.amdhsa_kernel fft_rtc_back_len2880_factors_10_6_6_2_2_2_wgs_96_tpt_96_halfLds_dp_ip_CI_unitstride_sbrr_R2C_dirReg
		.amdhsa_group_segment_fixed_size 0
		.amdhsa_private_segment_fixed_size 0
		.amdhsa_kernarg_size 88
		.amdhsa_user_sgpr_count 2
		.amdhsa_user_sgpr_dispatch_ptr 0
		.amdhsa_user_sgpr_queue_ptr 0
		.amdhsa_user_sgpr_kernarg_segment_ptr 1
		.amdhsa_user_sgpr_dispatch_id 0
		.amdhsa_user_sgpr_kernarg_preload_length 0
		.amdhsa_user_sgpr_kernarg_preload_offset 0
		.amdhsa_user_sgpr_private_segment_size 0
		.amdhsa_uses_dynamic_stack 0
		.amdhsa_enable_private_segment 0
		.amdhsa_system_sgpr_workgroup_id_x 1
		.amdhsa_system_sgpr_workgroup_id_y 0
		.amdhsa_system_sgpr_workgroup_id_z 0
		.amdhsa_system_sgpr_workgroup_info 0
		.amdhsa_system_vgpr_workitem_id 0
		.amdhsa_next_free_vgpr 274
		.amdhsa_next_free_sgpr 22
		.amdhsa_accum_offset 256
		.amdhsa_reserve_vcc 1
		.amdhsa_float_round_mode_32 0
		.amdhsa_float_round_mode_16_64 0
		.amdhsa_float_denorm_mode_32 3
		.amdhsa_float_denorm_mode_16_64 3
		.amdhsa_dx10_clamp 1
		.amdhsa_ieee_mode 1
		.amdhsa_fp16_overflow 0
		.amdhsa_tg_split 0
		.amdhsa_exception_fp_ieee_invalid_op 0
		.amdhsa_exception_fp_denorm_src 0
		.amdhsa_exception_fp_ieee_div_zero 0
		.amdhsa_exception_fp_ieee_overflow 0
		.amdhsa_exception_fp_ieee_underflow 0
		.amdhsa_exception_fp_ieee_inexact 0
		.amdhsa_exception_int_div_zero 0
	.end_amdhsa_kernel
	.text
.Lfunc_end0:
	.size	fft_rtc_back_len2880_factors_10_6_6_2_2_2_wgs_96_tpt_96_halfLds_dp_ip_CI_unitstride_sbrr_R2C_dirReg, .Lfunc_end0-fft_rtc_back_len2880_factors_10_6_6_2_2_2_wgs_96_tpt_96_halfLds_dp_ip_CI_unitstride_sbrr_R2C_dirReg
                                        ; -- End function
	.section	.AMDGPU.csdata,"",@progbits
; Kernel info:
; codeLenInByte = 23176
; NumSgprs: 28
; NumVgprs: 256
; NumAgprs: 18
; TotalNumVgprs: 274
; ScratchSize: 0
; MemoryBound: 0
; FloatMode: 240
; IeeeMode: 1
; LDSByteSize: 0 bytes/workgroup (compile time only)
; SGPRBlocks: 3
; VGPRBlocks: 34
; NumSGPRsForWavesPerEU: 28
; NumVGPRsForWavesPerEU: 274
; AccumOffset: 256
; Occupancy: 1
; WaveLimiterHint : 1
; COMPUTE_PGM_RSRC2:SCRATCH_EN: 0
; COMPUTE_PGM_RSRC2:USER_SGPR: 2
; COMPUTE_PGM_RSRC2:TRAP_HANDLER: 0
; COMPUTE_PGM_RSRC2:TGID_X_EN: 1
; COMPUTE_PGM_RSRC2:TGID_Y_EN: 0
; COMPUTE_PGM_RSRC2:TGID_Z_EN: 0
; COMPUTE_PGM_RSRC2:TIDIG_COMP_CNT: 0
; COMPUTE_PGM_RSRC3_GFX90A:ACCUM_OFFSET: 63
; COMPUTE_PGM_RSRC3_GFX90A:TG_SPLIT: 0
	.text
	.p2alignl 6, 3212836864
	.fill 256, 4, 3212836864
	.type	__hip_cuid_762d6ab0be48f8a0,@object ; @__hip_cuid_762d6ab0be48f8a0
	.section	.bss,"aw",@nobits
	.globl	__hip_cuid_762d6ab0be48f8a0
__hip_cuid_762d6ab0be48f8a0:
	.byte	0                               ; 0x0
	.size	__hip_cuid_762d6ab0be48f8a0, 1

	.ident	"AMD clang version 19.0.0git (https://github.com/RadeonOpenCompute/llvm-project roc-6.4.0 25133 c7fe45cf4b819c5991fe208aaa96edf142730f1d)"
	.section	".note.GNU-stack","",@progbits
	.addrsig
	.addrsig_sym __hip_cuid_762d6ab0be48f8a0
	.amdgpu_metadata
---
amdhsa.kernels:
  - .agpr_count:     18
    .args:
      - .actual_access:  read_only
        .address_space:  global
        .offset:         0
        .size:           8
        .value_kind:     global_buffer
      - .offset:         8
        .size:           8
        .value_kind:     by_value
      - .actual_access:  read_only
        .address_space:  global
        .offset:         16
        .size:           8
        .value_kind:     global_buffer
      - .actual_access:  read_only
        .address_space:  global
        .offset:         24
        .size:           8
        .value_kind:     global_buffer
      - .offset:         32
        .size:           8
        .value_kind:     by_value
      - .actual_access:  read_only
        .address_space:  global
        .offset:         40
        .size:           8
        .value_kind:     global_buffer
      - .actual_access:  read_only
        .address_space:  global
        .offset:         48
        .size:           8
        .value_kind:     global_buffer
      - .offset:         56
        .size:           4
        .value_kind:     by_value
      - .actual_access:  read_only
        .address_space:  global
        .offset:         64
        .size:           8
        .value_kind:     global_buffer
      - .actual_access:  read_only
        .address_space:  global
        .offset:         72
        .size:           8
        .value_kind:     global_buffer
      - .address_space:  global
        .offset:         80
        .size:           8
        .value_kind:     global_buffer
    .group_segment_fixed_size: 0
    .kernarg_segment_align: 8
    .kernarg_segment_size: 88
    .language:       OpenCL C
    .language_version:
      - 2
      - 0
    .max_flat_workgroup_size: 96
    .name:           fft_rtc_back_len2880_factors_10_6_6_2_2_2_wgs_96_tpt_96_halfLds_dp_ip_CI_unitstride_sbrr_R2C_dirReg
    .private_segment_fixed_size: 0
    .sgpr_count:     28
    .sgpr_spill_count: 0
    .symbol:         fft_rtc_back_len2880_factors_10_6_6_2_2_2_wgs_96_tpt_96_halfLds_dp_ip_CI_unitstride_sbrr_R2C_dirReg.kd
    .uniform_work_group_size: 1
    .uses_dynamic_stack: false
    .vgpr_count:     274
    .vgpr_spill_count: 2
    .wavefront_size: 64
amdhsa.target:   amdgcn-amd-amdhsa--gfx950
amdhsa.version:
  - 1
  - 2
...

	.end_amdgpu_metadata
